;; amdgpu-corpus repo=ROCm/rocFFT kind=compiled arch=gfx1100 opt=O3
	.text
	.amdgcn_target "amdgcn-amd-amdhsa--gfx1100"
	.amdhsa_code_object_version 6
	.protected	fft_rtc_fwd_len2430_factors_10_3_3_3_3_3_wgs_81_tpt_81_halfLds_dp_ip_CI_unitstride_sbrr_C2R_dirReg ; -- Begin function fft_rtc_fwd_len2430_factors_10_3_3_3_3_3_wgs_81_tpt_81_halfLds_dp_ip_CI_unitstride_sbrr_C2R_dirReg
	.globl	fft_rtc_fwd_len2430_factors_10_3_3_3_3_3_wgs_81_tpt_81_halfLds_dp_ip_CI_unitstride_sbrr_C2R_dirReg
	.p2align	8
	.type	fft_rtc_fwd_len2430_factors_10_3_3_3_3_3_wgs_81_tpt_81_halfLds_dp_ip_CI_unitstride_sbrr_C2R_dirReg,@function
fft_rtc_fwd_len2430_factors_10_3_3_3_3_3_wgs_81_tpt_81_halfLds_dp_ip_CI_unitstride_sbrr_C2R_dirReg: ; @fft_rtc_fwd_len2430_factors_10_3_3_3_3_3_wgs_81_tpt_81_halfLds_dp_ip_CI_unitstride_sbrr_C2R_dirReg
; %bb.0:
	s_clause 0x2
	s_load_b128 s[4:7], s[0:1], 0x0
	s_load_b64 s[8:9], s[0:1], 0x50
	s_load_b64 s[10:11], s[0:1], 0x18
	v_mul_u32_u24_e32 v1, 0x32a, v0
	v_mov_b32_e32 v3, 0
	v_mov_b32_e32 v4, 0
	s_delay_alu instid0(VALU_DEP_3) | instskip(SKIP_1) | instid1(VALU_DEP_1)
	v_lshrrev_b32_e32 v2, 16, v1
	v_mov_b32_e32 v1, 0
	v_dual_mov_b32 v6, v1 :: v_dual_add_nc_u32 v5, s15, v2
	s_waitcnt lgkmcnt(0)
	v_cmp_lt_u64_e64 s2, s[6:7], 2
	s_delay_alu instid0(VALU_DEP_1)
	s_and_b32 vcc_lo, exec_lo, s2
	s_cbranch_vccnz .LBB0_8
; %bb.1:
	s_load_b64 s[2:3], s[0:1], 0x10
	v_mov_b32_e32 v3, 0
	s_add_u32 s12, s10, 8
	v_mov_b32_e32 v4, 0
	s_addc_u32 s13, s11, 0
	s_mov_b64 s[16:17], 1
	s_waitcnt lgkmcnt(0)
	s_add_u32 s14, s2, 8
	s_addc_u32 s15, s3, 0
.LBB0_2:                                ; =>This Inner Loop Header: Depth=1
	s_load_b64 s[18:19], s[14:15], 0x0
                                        ; implicit-def: $vgpr7_vgpr8
	s_mov_b32 s2, exec_lo
	s_waitcnt lgkmcnt(0)
	v_or_b32_e32 v2, s19, v6
	s_delay_alu instid0(VALU_DEP_1)
	v_cmpx_ne_u64_e32 0, v[1:2]
	s_xor_b32 s3, exec_lo, s2
	s_cbranch_execz .LBB0_4
; %bb.3:                                ;   in Loop: Header=BB0_2 Depth=1
	v_cvt_f32_u32_e32 v2, s18
	v_cvt_f32_u32_e32 v7, s19
	s_sub_u32 s2, 0, s18
	s_subb_u32 s20, 0, s19
	s_delay_alu instid0(VALU_DEP_1) | instskip(NEXT) | instid1(VALU_DEP_1)
	v_fmac_f32_e32 v2, 0x4f800000, v7
	v_rcp_f32_e32 v2, v2
	s_waitcnt_depctr 0xfff
	v_mul_f32_e32 v2, 0x5f7ffffc, v2
	s_delay_alu instid0(VALU_DEP_1) | instskip(NEXT) | instid1(VALU_DEP_1)
	v_mul_f32_e32 v7, 0x2f800000, v2
	v_trunc_f32_e32 v7, v7
	s_delay_alu instid0(VALU_DEP_1) | instskip(SKIP_1) | instid1(VALU_DEP_2)
	v_fmac_f32_e32 v2, 0xcf800000, v7
	v_cvt_u32_f32_e32 v7, v7
	v_cvt_u32_f32_e32 v2, v2
	s_delay_alu instid0(VALU_DEP_2) | instskip(NEXT) | instid1(VALU_DEP_2)
	v_mul_lo_u32 v8, s2, v7
	v_mul_hi_u32 v9, s2, v2
	v_mul_lo_u32 v10, s20, v2
	s_delay_alu instid0(VALU_DEP_2) | instskip(SKIP_1) | instid1(VALU_DEP_2)
	v_add_nc_u32_e32 v8, v9, v8
	v_mul_lo_u32 v9, s2, v2
	v_add_nc_u32_e32 v8, v8, v10
	s_delay_alu instid0(VALU_DEP_2) | instskip(NEXT) | instid1(VALU_DEP_2)
	v_mul_hi_u32 v10, v2, v9
	v_mul_lo_u32 v11, v2, v8
	v_mul_hi_u32 v12, v2, v8
	v_mul_hi_u32 v13, v7, v9
	v_mul_lo_u32 v9, v7, v9
	v_mul_hi_u32 v14, v7, v8
	v_mul_lo_u32 v8, v7, v8
	v_add_co_u32 v10, vcc_lo, v10, v11
	v_add_co_ci_u32_e32 v11, vcc_lo, 0, v12, vcc_lo
	s_delay_alu instid0(VALU_DEP_2) | instskip(NEXT) | instid1(VALU_DEP_2)
	v_add_co_u32 v9, vcc_lo, v10, v9
	v_add_co_ci_u32_e32 v9, vcc_lo, v11, v13, vcc_lo
	v_add_co_ci_u32_e32 v10, vcc_lo, 0, v14, vcc_lo
	s_delay_alu instid0(VALU_DEP_2) | instskip(NEXT) | instid1(VALU_DEP_2)
	v_add_co_u32 v8, vcc_lo, v9, v8
	v_add_co_ci_u32_e32 v9, vcc_lo, 0, v10, vcc_lo
	s_delay_alu instid0(VALU_DEP_2) | instskip(NEXT) | instid1(VALU_DEP_2)
	v_add_co_u32 v2, vcc_lo, v2, v8
	v_add_co_ci_u32_e32 v7, vcc_lo, v7, v9, vcc_lo
	s_delay_alu instid0(VALU_DEP_2) | instskip(SKIP_1) | instid1(VALU_DEP_3)
	v_mul_hi_u32 v8, s2, v2
	v_mul_lo_u32 v10, s20, v2
	v_mul_lo_u32 v9, s2, v7
	s_delay_alu instid0(VALU_DEP_1) | instskip(SKIP_1) | instid1(VALU_DEP_2)
	v_add_nc_u32_e32 v8, v8, v9
	v_mul_lo_u32 v9, s2, v2
	v_add_nc_u32_e32 v8, v8, v10
	s_delay_alu instid0(VALU_DEP_2) | instskip(NEXT) | instid1(VALU_DEP_2)
	v_mul_hi_u32 v10, v2, v9
	v_mul_lo_u32 v11, v2, v8
	v_mul_hi_u32 v12, v2, v8
	v_mul_hi_u32 v13, v7, v9
	v_mul_lo_u32 v9, v7, v9
	v_mul_hi_u32 v14, v7, v8
	v_mul_lo_u32 v8, v7, v8
	v_add_co_u32 v10, vcc_lo, v10, v11
	v_add_co_ci_u32_e32 v11, vcc_lo, 0, v12, vcc_lo
	s_delay_alu instid0(VALU_DEP_2) | instskip(NEXT) | instid1(VALU_DEP_2)
	v_add_co_u32 v9, vcc_lo, v10, v9
	v_add_co_ci_u32_e32 v9, vcc_lo, v11, v13, vcc_lo
	v_add_co_ci_u32_e32 v10, vcc_lo, 0, v14, vcc_lo
	s_delay_alu instid0(VALU_DEP_2) | instskip(NEXT) | instid1(VALU_DEP_2)
	v_add_co_u32 v8, vcc_lo, v9, v8
	v_add_co_ci_u32_e32 v9, vcc_lo, 0, v10, vcc_lo
	s_delay_alu instid0(VALU_DEP_2) | instskip(NEXT) | instid1(VALU_DEP_2)
	v_add_co_u32 v2, vcc_lo, v2, v8
	v_add_co_ci_u32_e32 v13, vcc_lo, v7, v9, vcc_lo
	s_delay_alu instid0(VALU_DEP_2) | instskip(SKIP_1) | instid1(VALU_DEP_3)
	v_mul_hi_u32 v14, v5, v2
	v_mad_u64_u32 v[9:10], null, v6, v2, 0
	v_mad_u64_u32 v[7:8], null, v5, v13, 0
	;; [unrolled: 1-line block ×3, first 2 shown]
	s_delay_alu instid0(VALU_DEP_2) | instskip(NEXT) | instid1(VALU_DEP_3)
	v_add_co_u32 v2, vcc_lo, v14, v7
	v_add_co_ci_u32_e32 v7, vcc_lo, 0, v8, vcc_lo
	s_delay_alu instid0(VALU_DEP_2) | instskip(NEXT) | instid1(VALU_DEP_2)
	v_add_co_u32 v2, vcc_lo, v2, v9
	v_add_co_ci_u32_e32 v2, vcc_lo, v7, v10, vcc_lo
	v_add_co_ci_u32_e32 v7, vcc_lo, 0, v12, vcc_lo
	s_delay_alu instid0(VALU_DEP_2) | instskip(NEXT) | instid1(VALU_DEP_2)
	v_add_co_u32 v2, vcc_lo, v2, v11
	v_add_co_ci_u32_e32 v9, vcc_lo, 0, v7, vcc_lo
	s_delay_alu instid0(VALU_DEP_2) | instskip(SKIP_1) | instid1(VALU_DEP_3)
	v_mul_lo_u32 v10, s19, v2
	v_mad_u64_u32 v[7:8], null, s18, v2, 0
	v_mul_lo_u32 v11, s18, v9
	s_delay_alu instid0(VALU_DEP_2) | instskip(NEXT) | instid1(VALU_DEP_2)
	v_sub_co_u32 v7, vcc_lo, v5, v7
	v_add3_u32 v8, v8, v11, v10
	s_delay_alu instid0(VALU_DEP_1) | instskip(NEXT) | instid1(VALU_DEP_1)
	v_sub_nc_u32_e32 v10, v6, v8
	v_subrev_co_ci_u32_e64 v10, s2, s19, v10, vcc_lo
	v_add_co_u32 v11, s2, v2, 2
	s_delay_alu instid0(VALU_DEP_1) | instskip(SKIP_3) | instid1(VALU_DEP_3)
	v_add_co_ci_u32_e64 v12, s2, 0, v9, s2
	v_sub_co_u32 v13, s2, v7, s18
	v_sub_co_ci_u32_e32 v8, vcc_lo, v6, v8, vcc_lo
	v_subrev_co_ci_u32_e64 v10, s2, 0, v10, s2
	v_cmp_le_u32_e32 vcc_lo, s18, v13
	s_delay_alu instid0(VALU_DEP_3) | instskip(SKIP_1) | instid1(VALU_DEP_4)
	v_cmp_eq_u32_e64 s2, s19, v8
	v_cndmask_b32_e64 v13, 0, -1, vcc_lo
	v_cmp_le_u32_e32 vcc_lo, s19, v10
	v_cndmask_b32_e64 v14, 0, -1, vcc_lo
	v_cmp_le_u32_e32 vcc_lo, s18, v7
	;; [unrolled: 2-line block ×3, first 2 shown]
	v_cndmask_b32_e64 v15, 0, -1, vcc_lo
	v_cmp_eq_u32_e32 vcc_lo, s19, v10
	s_delay_alu instid0(VALU_DEP_2) | instskip(SKIP_3) | instid1(VALU_DEP_3)
	v_cndmask_b32_e64 v7, v15, v7, s2
	v_cndmask_b32_e32 v10, v14, v13, vcc_lo
	v_add_co_u32 v13, vcc_lo, v2, 1
	v_add_co_ci_u32_e32 v14, vcc_lo, 0, v9, vcc_lo
	v_cmp_ne_u32_e32 vcc_lo, 0, v10
	s_delay_alu instid0(VALU_DEP_2) | instskip(NEXT) | instid1(VALU_DEP_4)
	v_cndmask_b32_e32 v8, v14, v12, vcc_lo
	v_cndmask_b32_e32 v10, v13, v11, vcc_lo
	v_cmp_ne_u32_e32 vcc_lo, 0, v7
	s_delay_alu instid0(VALU_DEP_2)
	v_dual_cndmask_b32 v7, v2, v10 :: v_dual_cndmask_b32 v8, v9, v8
.LBB0_4:                                ;   in Loop: Header=BB0_2 Depth=1
	s_and_not1_saveexec_b32 s2, s3
	s_cbranch_execz .LBB0_6
; %bb.5:                                ;   in Loop: Header=BB0_2 Depth=1
	v_cvt_f32_u32_e32 v2, s18
	s_sub_i32 s3, 0, s18
	s_delay_alu instid0(VALU_DEP_1) | instskip(SKIP_2) | instid1(VALU_DEP_1)
	v_rcp_iflag_f32_e32 v2, v2
	s_waitcnt_depctr 0xfff
	v_mul_f32_e32 v2, 0x4f7ffffe, v2
	v_cvt_u32_f32_e32 v2, v2
	s_delay_alu instid0(VALU_DEP_1) | instskip(NEXT) | instid1(VALU_DEP_1)
	v_mul_lo_u32 v7, s3, v2
	v_mul_hi_u32 v7, v2, v7
	s_delay_alu instid0(VALU_DEP_1) | instskip(NEXT) | instid1(VALU_DEP_1)
	v_add_nc_u32_e32 v2, v2, v7
	v_mul_hi_u32 v2, v5, v2
	s_delay_alu instid0(VALU_DEP_1) | instskip(SKIP_1) | instid1(VALU_DEP_2)
	v_mul_lo_u32 v7, v2, s18
	v_add_nc_u32_e32 v8, 1, v2
	v_sub_nc_u32_e32 v7, v5, v7
	s_delay_alu instid0(VALU_DEP_1) | instskip(SKIP_1) | instid1(VALU_DEP_2)
	v_subrev_nc_u32_e32 v9, s18, v7
	v_cmp_le_u32_e32 vcc_lo, s18, v7
	v_dual_cndmask_b32 v7, v7, v9 :: v_dual_cndmask_b32 v2, v2, v8
	s_delay_alu instid0(VALU_DEP_1) | instskip(NEXT) | instid1(VALU_DEP_2)
	v_cmp_le_u32_e32 vcc_lo, s18, v7
	v_add_nc_u32_e32 v8, 1, v2
	s_delay_alu instid0(VALU_DEP_1)
	v_dual_cndmask_b32 v7, v2, v8 :: v_dual_mov_b32 v8, v1
.LBB0_6:                                ;   in Loop: Header=BB0_2 Depth=1
	s_or_b32 exec_lo, exec_lo, s2
	s_load_b64 s[2:3], s[12:13], 0x0
	s_delay_alu instid0(VALU_DEP_1) | instskip(NEXT) | instid1(VALU_DEP_2)
	v_mul_lo_u32 v2, v8, s18
	v_mul_lo_u32 v11, v7, s19
	v_mad_u64_u32 v[9:10], null, v7, s18, 0
	s_add_u32 s16, s16, 1
	s_addc_u32 s17, s17, 0
	s_add_u32 s12, s12, 8
	s_addc_u32 s13, s13, 0
	;; [unrolled: 2-line block ×3, first 2 shown]
	s_delay_alu instid0(VALU_DEP_1) | instskip(SKIP_1) | instid1(VALU_DEP_2)
	v_add3_u32 v2, v10, v11, v2
	v_sub_co_u32 v9, vcc_lo, v5, v9
	v_sub_co_ci_u32_e32 v2, vcc_lo, v6, v2, vcc_lo
	s_waitcnt lgkmcnt(0)
	s_delay_alu instid0(VALU_DEP_2) | instskip(NEXT) | instid1(VALU_DEP_2)
	v_mul_lo_u32 v10, s3, v9
	v_mul_lo_u32 v2, s2, v2
	v_mad_u64_u32 v[5:6], null, s2, v9, v[3:4]
	v_cmp_ge_u64_e64 s2, s[16:17], s[6:7]
	s_delay_alu instid0(VALU_DEP_1) | instskip(NEXT) | instid1(VALU_DEP_2)
	s_and_b32 vcc_lo, exec_lo, s2
	v_add3_u32 v4, v10, v6, v2
	s_delay_alu instid0(VALU_DEP_3)
	v_mov_b32_e32 v3, v5
	s_cbranch_vccnz .LBB0_9
; %bb.7:                                ;   in Loop: Header=BB0_2 Depth=1
	v_dual_mov_b32 v5, v7 :: v_dual_mov_b32 v6, v8
	s_branch .LBB0_2
.LBB0_8:
	v_dual_mov_b32 v8, v6 :: v_dual_mov_b32 v7, v5
.LBB0_9:
	s_lshl_b64 s[2:3], s[6:7], 3
	s_delay_alu instid0(SALU_CYCLE_1)
	s_add_u32 s2, s10, s2
	s_addc_u32 s3, s11, s3
	s_load_b64 s[2:3], s[2:3], 0x0
	s_load_b64 s[0:1], s[0:1], 0x20
	s_waitcnt lgkmcnt(0)
	v_mul_lo_u32 v5, s2, v8
	v_mul_lo_u32 v6, s3, v7
	v_mad_u64_u32 v[1:2], null, s2, v7, v[3:4]
	v_mul_hi_u32 v3, 0x3291620, v0
	v_cmp_gt_u64_e32 vcc_lo, s[0:1], v[7:8]
	s_delay_alu instid0(VALU_DEP_3) | instskip(NEXT) | instid1(VALU_DEP_3)
	v_add3_u32 v2, v6, v2, v5
	v_mul_u32_u24_e32 v3, 0x51, v3
	s_delay_alu instid0(VALU_DEP_2) | instskip(NEXT) | instid1(VALU_DEP_2)
	v_lshlrev_b64 v[1:2], 4, v[1:2]
	v_sub_nc_u32_e32 v80, v0, v3
	scratch_store_b64 off, v[1:2], off offset:72 ; 8-byte Folded Spill
	s_and_saveexec_b32 s1, vcc_lo
	s_cbranch_execz .LBB0_13
; %bb.10:
	scratch_load_b64 v[0:1], off, off offset:72 ; 8-byte Folded Reload
	v_mov_b32_e32 v81, 0
	s_delay_alu instid0(VALU_DEP_1) | instskip(SKIP_2) | instid1(VALU_DEP_1)
	v_lshlrev_b64 v[2:3], 4, v[80:81]
	s_waitcnt vmcnt(0)
	v_add_co_u32 v0, s0, s8, v0
	v_add_co_ci_u32_e64 v1, s0, s9, v1, s0
	s_delay_alu instid0(VALU_DEP_2) | instskip(NEXT) | instid1(VALU_DEP_1)
	v_add_co_u32 v34, s0, v0, v2
	v_add_co_ci_u32_e64 v35, s0, v1, v3, s0
	s_clause 0x1
	global_load_b128 v[2:5], v[34:35], off
	global_load_b128 v[6:9], v[34:35], off offset:1296
	v_add_co_u32 v26, s0, 0x1000, v34
	s_delay_alu instid0(VALU_DEP_1) | instskip(SKIP_1) | instid1(VALU_DEP_1)
	v_add_co_ci_u32_e64 v27, s0, 0, v35, s0
	v_add_co_u32 v38, s0, 0x2000, v34
	v_add_co_ci_u32_e64 v39, s0, 0, v35, s0
	v_add_co_u32 v50, s0, 0x3000, v34
	s_delay_alu instid0(VALU_DEP_1) | instskip(SKIP_1) | instid1(VALU_DEP_1)
	v_add_co_ci_u32_e64 v51, s0, 0, v35, s0
	v_add_co_u32 v62, s0, 0x4000, v34
	v_add_co_ci_u32_e64 v63, s0, 0, v35, s0
	;; [unrolled: 5-line block ×4, first 2 shown]
	v_add_co_u32 v124, s0, 0x9000, v34
	s_delay_alu instid0(VALU_DEP_1)
	v_add_co_ci_u32_e64 v125, s0, 0, v35, s0
	s_clause 0x1b
	global_load_b128 v[10:13], v[34:35], off offset:2592
	global_load_b128 v[14:17], v[34:35], off offset:3888
	;; [unrolled: 1-line block ×28, first 2 shown]
	v_lshl_add_u32 v78, v80, 4, 0
	v_cmp_eq_u32_e64 s0, 0x50, v80
	s_waitcnt vmcnt(29)
	ds_store_b128 v78, v[2:5]
	s_waitcnt vmcnt(28)
	ds_store_b128 v78, v[6:9] offset:1296
	s_waitcnt vmcnt(27)
	ds_store_b128 v78, v[10:13] offset:2592
	s_waitcnt vmcnt(26)
	ds_store_b128 v78, v[14:17] offset:3888
	s_waitcnt vmcnt(25)
	ds_store_b128 v78, v[18:21] offset:5184
	s_waitcnt vmcnt(24)
	ds_store_b128 v78, v[22:25] offset:6480
	s_waitcnt vmcnt(23)
	ds_store_b128 v78, v[26:29] offset:7776
	s_waitcnt vmcnt(22)
	ds_store_b128 v78, v[30:33] offset:9072
	s_waitcnt vmcnt(21)
	ds_store_b128 v78, v[34:37] offset:10368
	s_waitcnt vmcnt(20)
	ds_store_b128 v78, v[38:41] offset:11664
	s_waitcnt vmcnt(19)
	ds_store_b128 v78, v[42:45] offset:12960
	s_waitcnt vmcnt(18)
	ds_store_b128 v78, v[46:49] offset:14256
	s_waitcnt vmcnt(17)
	ds_store_b128 v78, v[50:53] offset:15552
	s_waitcnt vmcnt(16)
	ds_store_b128 v78, v[54:57] offset:16848
	s_waitcnt vmcnt(15)
	ds_store_b128 v78, v[58:61] offset:18144
	s_waitcnt vmcnt(14)
	ds_store_b128 v78, v[62:65] offset:19440
	s_waitcnt vmcnt(13)
	ds_store_b128 v78, v[66:69] offset:20736
	s_waitcnt vmcnt(12)
	ds_store_b128 v78, v[70:73] offset:22032
	s_waitcnt vmcnt(11)
	ds_store_b128 v78, v[74:77] offset:23328
	s_waitcnt vmcnt(10)
	ds_store_b128 v78, v[84:87] offset:24624
	s_waitcnt vmcnt(9)
	ds_store_b128 v78, v[88:91] offset:25920
	s_waitcnt vmcnt(8)
	ds_store_b128 v78, v[92:95] offset:27216
	s_waitcnt vmcnt(7)
	ds_store_b128 v78, v[96:99] offset:28512
	s_waitcnt vmcnt(6)
	ds_store_b128 v78, v[100:103] offset:29808
	s_waitcnt vmcnt(5)
	ds_store_b128 v78, v[104:107] offset:31104
	s_waitcnt vmcnt(4)
	ds_store_b128 v78, v[108:111] offset:32400
	s_waitcnt vmcnt(3)
	ds_store_b128 v78, v[112:115] offset:33696
	s_waitcnt vmcnt(2)
	ds_store_b128 v78, v[116:119] offset:34992
	s_waitcnt vmcnt(1)
	ds_store_b128 v78, v[120:123] offset:36288
	s_waitcnt vmcnt(0)
	ds_store_b128 v78, v[124:127] offset:37584
	s_and_saveexec_b32 s2, s0
	s_cbranch_execz .LBB0_12
; %bb.11:
	v_add_co_u32 v0, s0, 0x9000, v0
	s_delay_alu instid0(VALU_DEP_1)
	v_add_co_ci_u32_e64 v1, s0, 0, v1, s0
	v_mov_b32_e32 v80, 0x50
	global_load_b128 v[0:3], v[0:1], off offset:2016
	s_waitcnt vmcnt(0)
	ds_store_b128 v81, v[0:3] offset:38880
.LBB0_12:
	s_or_b32 exec_lo, exec_lo, s2
.LBB0_13:
	s_delay_alu instid0(SALU_CYCLE_1)
	s_or_b32 exec_lo, exec_lo, s1
	v_lshlrev_b32_e32 v0, 4, v80
	s_waitcnt lgkmcnt(0)
	s_waitcnt_vscnt null, 0x0
	s_barrier
	buffer_gl0_inv
	s_add_u32 s1, s4, 0x9740
	v_add_nc_u32_e32 v112, 0, v0
	v_sub_nc_u32_e32 v10, 0, v0
	s_addc_u32 s2, s5, 0
	s_mov_b32 s3, exec_lo
                                        ; implicit-def: $vgpr4_vgpr5
	ds_load_b64 v[6:7], v112
	ds_load_b64 v[8:9], v10 offset:38880
	s_waitcnt lgkmcnt(0)
	v_add_f64 v[0:1], v[6:7], v[8:9]
	v_add_f64 v[2:3], v[6:7], -v[8:9]
	v_cmpx_ne_u32_e32 0, v80
	s_xor_b32 s3, exec_lo, s3
	s_cbranch_execz .LBB0_15
; %bb.14:
	v_mov_b32_e32 v81, 0
	v_add_f64 v[13:14], v[6:7], v[8:9]
	v_add_f64 v[15:16], v[6:7], -v[8:9]
	s_delay_alu instid0(VALU_DEP_3) | instskip(NEXT) | instid1(VALU_DEP_1)
	v_lshlrev_b64 v[0:1], 4, v[80:81]
	v_add_co_u32 v0, s0, s1, v0
	s_delay_alu instid0(VALU_DEP_1)
	v_add_co_ci_u32_e64 v1, s0, s2, v1, s0
	global_load_b128 v[2:5], v[0:1], off
	ds_load_b64 v[0:1], v10 offset:38888
	ds_load_b64 v[11:12], v112 offset:8
	s_waitcnt lgkmcnt(0)
	v_add_f64 v[6:7], v[0:1], v[11:12]
	v_add_f64 v[0:1], v[11:12], -v[0:1]
	s_waitcnt vmcnt(0)
	v_fma_f64 v[8:9], v[15:16], v[4:5], v[13:14]
	v_fma_f64 v[11:12], -v[15:16], v[4:5], v[13:14]
	s_delay_alu instid0(VALU_DEP_3) | instskip(SKIP_1) | instid1(VALU_DEP_4)
	v_fma_f64 v[13:14], v[6:7], v[4:5], -v[0:1]
	v_fma_f64 v[4:5], v[6:7], v[4:5], v[0:1]
	v_fma_f64 v[0:1], -v[6:7], v[2:3], v[8:9]
	s_delay_alu instid0(VALU_DEP_4) | instskip(NEXT) | instid1(VALU_DEP_4)
	v_fma_f64 v[6:7], v[6:7], v[2:3], v[11:12]
	v_fma_f64 v[8:9], v[15:16], v[2:3], v[13:14]
	s_delay_alu instid0(VALU_DEP_4)
	v_fma_f64 v[2:3], v[15:16], v[2:3], v[4:5]
	v_dual_mov_b32 v4, v80 :: v_dual_mov_b32 v5, v81
	ds_store_b128 v10, v[6:9] offset:38880
.LBB0_15:
	s_and_not1_saveexec_b32 s0, s3
	s_cbranch_execz .LBB0_17
; %bb.16:
	v_mov_b32_e32 v8, 0
	ds_load_b128 v[4:7], v8 offset:19440
	s_waitcnt lgkmcnt(0)
	v_add_f64 v[11:12], v[4:5], v[4:5]
	v_mul_f64 v[13:14], v[6:7], -2.0
	v_mov_b32_e32 v4, 0
	v_mov_b32_e32 v5, 0
	ds_store_b128 v8, v[11:14] offset:19440
.LBB0_17:
	s_or_b32 exec_lo, exec_lo, s0
	v_lshlrev_b64 v[4:5], 4, v[4:5]
	v_add_nc_u32_e32 v43, 0x1e6, v80
	v_add_nc_u32_e32 v127, 0x195, v80
	;; [unrolled: 1-line block ×4, first 2 shown]
	v_and_b32_e32 v81, 0xff, v80
	v_add_co_u32 v4, s0, s1, v4
	s_delay_alu instid0(VALU_DEP_1)
	v_add_co_ci_u32_e64 v5, s0, s2, v5, s0
	s_mov_b32 s2, 0x134454ff
	s_mov_b32 s3, 0x3fee6f0e
	;; [unrolled: 1-line block ×3, first 2 shown]
	s_clause 0x1
	global_load_b128 v[6:9], v[4:5], off offset:1296
	global_load_b128 v[11:14], v[4:5], off offset:2592
	ds_store_b128 v112, v[0:3]
	ds_load_b128 v[0:3], v112 offset:1296
	ds_load_b128 v[15:18], v10 offset:37584
	global_load_b128 v[19:22], v[4:5], off offset:3888
	s_mov_b32 s10, s2
	s_mov_b32 s7, 0xbfe2cf23
	;; [unrolled: 1-line block ×6, first 2 shown]
	s_waitcnt lgkmcnt(0)
	v_add_f64 v[23:24], v[0:1], v[15:16]
	v_add_f64 v[25:26], v[17:18], v[2:3]
	v_add_f64 v[27:28], v[0:1], -v[15:16]
	v_add_f64 v[0:1], v[2:3], -v[17:18]
	s_waitcnt vmcnt(2)
	s_delay_alu instid0(VALU_DEP_2) | instskip(NEXT) | instid1(VALU_DEP_2)
	v_fma_f64 v[2:3], v[27:28], v[8:9], v[23:24]
	v_fma_f64 v[15:16], v[25:26], v[8:9], v[0:1]
	v_fma_f64 v[17:18], -v[27:28], v[8:9], v[23:24]
	v_fma_f64 v[8:9], v[25:26], v[8:9], -v[0:1]
	v_add_co_u32 v23, s0, 0x1000, v4
	s_delay_alu instid0(VALU_DEP_1)
	v_add_co_ci_u32_e64 v24, s0, 0, v5, s0
	v_fma_f64 v[0:1], -v[25:26], v[6:7], v[2:3]
	v_fma_f64 v[2:3], v[27:28], v[6:7], v[15:16]
	v_fma_f64 v[15:16], v[25:26], v[6:7], v[17:18]
	;; [unrolled: 1-line block ×3, first 2 shown]
	ds_store_b128 v112, v[0:3] offset:1296
	ds_store_b128 v10, v[15:18] offset:37584
	ds_load_b128 v[0:3], v112 offset:2592
	ds_load_b128 v[6:9], v10 offset:36288
	global_load_b128 v[15:18], v[23:24], off offset:1088
	s_waitcnt lgkmcnt(0)
	v_add_f64 v[25:26], v[0:1], v[6:7]
	v_add_f64 v[27:28], v[8:9], v[2:3]
	v_add_f64 v[29:30], v[0:1], -v[6:7]
	v_add_f64 v[0:1], v[2:3], -v[8:9]
	s_waitcnt vmcnt(2)
	s_delay_alu instid0(VALU_DEP_2) | instskip(NEXT) | instid1(VALU_DEP_2)
	v_fma_f64 v[2:3], v[29:30], v[13:14], v[25:26]
	v_fma_f64 v[6:7], v[27:28], v[13:14], v[0:1]
	v_fma_f64 v[8:9], -v[29:30], v[13:14], v[25:26]
	v_fma_f64 v[13:14], v[27:28], v[13:14], -v[0:1]
	s_delay_alu instid0(VALU_DEP_4) | instskip(NEXT) | instid1(VALU_DEP_4)
	v_fma_f64 v[0:1], -v[27:28], v[11:12], v[2:3]
	v_fma_f64 v[2:3], v[29:30], v[11:12], v[6:7]
	s_delay_alu instid0(VALU_DEP_4) | instskip(NEXT) | instid1(VALU_DEP_4)
	v_fma_f64 v[6:7], v[27:28], v[11:12], v[8:9]
	v_fma_f64 v[8:9], v[29:30], v[11:12], v[13:14]
	ds_store_b128 v112, v[0:3] offset:2592
	ds_store_b128 v10, v[6:9] offset:36288
	ds_load_b128 v[0:3], v112 offset:3888
	ds_load_b128 v[6:9], v10 offset:34992
	global_load_b128 v[11:14], v[23:24], off offset:2384
	s_waitcnt lgkmcnt(0)
	v_add_f64 v[25:26], v[0:1], v[6:7]
	v_add_f64 v[27:28], v[8:9], v[2:3]
	v_add_f64 v[29:30], v[0:1], -v[6:7]
	v_add_f64 v[0:1], v[2:3], -v[8:9]
	s_waitcnt vmcnt(2)
	s_delay_alu instid0(VALU_DEP_2) | instskip(NEXT) | instid1(VALU_DEP_2)
	v_fma_f64 v[2:3], v[29:30], v[21:22], v[25:26]
	v_fma_f64 v[6:7], v[27:28], v[21:22], v[0:1]
	v_fma_f64 v[8:9], -v[29:30], v[21:22], v[25:26]
	v_fma_f64 v[21:22], v[27:28], v[21:22], -v[0:1]
	s_delay_alu instid0(VALU_DEP_4) | instskip(NEXT) | instid1(VALU_DEP_4)
	v_fma_f64 v[0:1], -v[27:28], v[19:20], v[2:3]
	v_fma_f64 v[2:3], v[29:30], v[19:20], v[6:7]
	s_delay_alu instid0(VALU_DEP_4) | instskip(NEXT) | instid1(VALU_DEP_4)
	v_fma_f64 v[6:7], v[27:28], v[19:20], v[8:9]
	v_fma_f64 v[8:9], v[29:30], v[19:20], v[21:22]
	ds_store_b128 v112, v[0:3] offset:3888
	ds_store_b128 v10, v[6:9] offset:34992
	ds_load_b128 v[0:3], v112 offset:5184
	ds_load_b128 v[6:9], v10 offset:33696
	global_load_b128 v[19:22], v[23:24], off offset:3680
	s_waitcnt lgkmcnt(0)
	v_add_f64 v[23:24], v[0:1], v[6:7]
	v_add_f64 v[25:26], v[8:9], v[2:3]
	v_add_f64 v[27:28], v[0:1], -v[6:7]
	v_add_f64 v[0:1], v[2:3], -v[8:9]
	s_waitcnt vmcnt(2)
	s_delay_alu instid0(VALU_DEP_2) | instskip(NEXT) | instid1(VALU_DEP_2)
	v_fma_f64 v[2:3], v[27:28], v[17:18], v[23:24]
	v_fma_f64 v[6:7], v[25:26], v[17:18], v[0:1]
	v_fma_f64 v[8:9], -v[27:28], v[17:18], v[23:24]
	v_fma_f64 v[17:18], v[25:26], v[17:18], -v[0:1]
	v_add_co_u32 v23, s0, 0x2000, v4
	s_delay_alu instid0(VALU_DEP_1)
	v_add_co_ci_u32_e64 v24, s0, 0, v5, s0
	v_fma_f64 v[0:1], -v[25:26], v[15:16], v[2:3]
	v_fma_f64 v[2:3], v[27:28], v[15:16], v[6:7]
	v_fma_f64 v[6:7], v[25:26], v[15:16], v[8:9]
	;; [unrolled: 1-line block ×3, first 2 shown]
	ds_store_b128 v112, v[0:3] offset:5184
	ds_store_b128 v10, v[6:9] offset:33696
	ds_load_b128 v[0:3], v112 offset:6480
	ds_load_b128 v[6:9], v10 offset:32400
	global_load_b128 v[15:18], v[23:24], off offset:880
	s_waitcnt lgkmcnt(0)
	v_add_f64 v[25:26], v[0:1], v[6:7]
	v_add_f64 v[27:28], v[8:9], v[2:3]
	v_add_f64 v[29:30], v[0:1], -v[6:7]
	v_add_f64 v[0:1], v[2:3], -v[8:9]
	s_waitcnt vmcnt(2)
	s_delay_alu instid0(VALU_DEP_2) | instskip(NEXT) | instid1(VALU_DEP_2)
	v_fma_f64 v[2:3], v[29:30], v[13:14], v[25:26]
	v_fma_f64 v[6:7], v[27:28], v[13:14], v[0:1]
	v_fma_f64 v[8:9], -v[29:30], v[13:14], v[25:26]
	v_fma_f64 v[13:14], v[27:28], v[13:14], -v[0:1]
	s_delay_alu instid0(VALU_DEP_4) | instskip(NEXT) | instid1(VALU_DEP_4)
	v_fma_f64 v[0:1], -v[27:28], v[11:12], v[2:3]
	v_fma_f64 v[2:3], v[29:30], v[11:12], v[6:7]
	s_delay_alu instid0(VALU_DEP_4) | instskip(NEXT) | instid1(VALU_DEP_4)
	v_fma_f64 v[6:7], v[27:28], v[11:12], v[8:9]
	v_fma_f64 v[8:9], v[29:30], v[11:12], v[13:14]
	ds_store_b128 v112, v[0:3] offset:6480
	ds_store_b128 v10, v[6:9] offset:32400
	ds_load_b128 v[0:3], v112 offset:7776
	ds_load_b128 v[6:9], v10 offset:31104
	global_load_b128 v[11:14], v[23:24], off offset:2176
	s_waitcnt lgkmcnt(0)
	v_add_f64 v[25:26], v[0:1], v[6:7]
	v_add_f64 v[27:28], v[8:9], v[2:3]
	v_add_f64 v[29:30], v[0:1], -v[6:7]
	v_add_f64 v[0:1], v[2:3], -v[8:9]
	s_waitcnt vmcnt(2)
	s_delay_alu instid0(VALU_DEP_2) | instskip(NEXT) | instid1(VALU_DEP_2)
	v_fma_f64 v[2:3], v[29:30], v[21:22], v[25:26]
	v_fma_f64 v[6:7], v[27:28], v[21:22], v[0:1]
	v_fma_f64 v[8:9], -v[29:30], v[21:22], v[25:26]
	v_fma_f64 v[21:22], v[27:28], v[21:22], -v[0:1]
	s_delay_alu instid0(VALU_DEP_4) | instskip(NEXT) | instid1(VALU_DEP_4)
	v_fma_f64 v[0:1], -v[27:28], v[19:20], v[2:3]
	v_fma_f64 v[2:3], v[29:30], v[19:20], v[6:7]
	s_delay_alu instid0(VALU_DEP_4) | instskip(NEXT) | instid1(VALU_DEP_4)
	v_fma_f64 v[6:7], v[27:28], v[19:20], v[8:9]
	v_fma_f64 v[8:9], v[29:30], v[19:20], v[21:22]
	ds_store_b128 v112, v[0:3] offset:7776
	ds_store_b128 v10, v[6:9] offset:31104
	ds_load_b128 v[0:3], v112 offset:9072
	ds_load_b128 v[6:9], v10 offset:29808
	global_load_b128 v[19:22], v[23:24], off offset:3472
	s_waitcnt lgkmcnt(0)
	v_add_f64 v[23:24], v[0:1], v[6:7]
	v_add_f64 v[25:26], v[8:9], v[2:3]
	v_add_f64 v[27:28], v[0:1], -v[6:7]
	v_add_f64 v[0:1], v[2:3], -v[8:9]
	s_waitcnt vmcnt(2)
	s_delay_alu instid0(VALU_DEP_2) | instskip(NEXT) | instid1(VALU_DEP_2)
	v_fma_f64 v[2:3], v[27:28], v[17:18], v[23:24]
	v_fma_f64 v[6:7], v[25:26], v[17:18], v[0:1]
	v_fma_f64 v[8:9], -v[27:28], v[17:18], v[23:24]
	v_fma_f64 v[17:18], v[25:26], v[17:18], -v[0:1]
	v_add_co_u32 v23, s0, 0x3000, v4
	s_delay_alu instid0(VALU_DEP_1)
	v_add_co_ci_u32_e64 v24, s0, 0, v5, s0
	v_fma_f64 v[0:1], -v[25:26], v[15:16], v[2:3]
	v_fma_f64 v[2:3], v[27:28], v[15:16], v[6:7]
	v_fma_f64 v[6:7], v[25:26], v[15:16], v[8:9]
	;; [unrolled: 1-line block ×3, first 2 shown]
	ds_store_b128 v112, v[0:3] offset:9072
	ds_store_b128 v10, v[6:9] offset:29808
	ds_load_b128 v[0:3], v112 offset:10368
	ds_load_b128 v[6:9], v10 offset:28512
	global_load_b128 v[15:18], v[23:24], off offset:672
	s_waitcnt lgkmcnt(0)
	v_add_f64 v[25:26], v[0:1], v[6:7]
	v_add_f64 v[27:28], v[8:9], v[2:3]
	v_add_f64 v[29:30], v[0:1], -v[6:7]
	v_add_f64 v[0:1], v[2:3], -v[8:9]
	s_waitcnt vmcnt(2)
	s_delay_alu instid0(VALU_DEP_2) | instskip(NEXT) | instid1(VALU_DEP_2)
	v_fma_f64 v[2:3], v[29:30], v[13:14], v[25:26]
	v_fma_f64 v[6:7], v[27:28], v[13:14], v[0:1]
	v_fma_f64 v[8:9], -v[29:30], v[13:14], v[25:26]
	v_fma_f64 v[13:14], v[27:28], v[13:14], -v[0:1]
	s_delay_alu instid0(VALU_DEP_4) | instskip(NEXT) | instid1(VALU_DEP_4)
	v_fma_f64 v[0:1], -v[27:28], v[11:12], v[2:3]
	v_fma_f64 v[2:3], v[29:30], v[11:12], v[6:7]
	s_delay_alu instid0(VALU_DEP_4) | instskip(NEXT) | instid1(VALU_DEP_4)
	v_fma_f64 v[6:7], v[27:28], v[11:12], v[8:9]
	v_fma_f64 v[8:9], v[29:30], v[11:12], v[13:14]
	ds_store_b128 v112, v[0:3] offset:10368
	ds_store_b128 v10, v[6:9] offset:28512
	ds_load_b128 v[0:3], v112 offset:11664
	ds_load_b128 v[6:9], v10 offset:27216
	global_load_b128 v[11:14], v[23:24], off offset:1968
	s_waitcnt lgkmcnt(0)
	v_add_f64 v[25:26], v[0:1], v[6:7]
	v_add_f64 v[27:28], v[8:9], v[2:3]
	v_add_f64 v[29:30], v[0:1], -v[6:7]
	v_add_f64 v[0:1], v[2:3], -v[8:9]
	s_waitcnt vmcnt(2)
	s_delay_alu instid0(VALU_DEP_2) | instskip(NEXT) | instid1(VALU_DEP_2)
	v_fma_f64 v[2:3], v[29:30], v[21:22], v[25:26]
	v_fma_f64 v[6:7], v[27:28], v[21:22], v[0:1]
	v_fma_f64 v[8:9], -v[29:30], v[21:22], v[25:26]
	v_fma_f64 v[21:22], v[27:28], v[21:22], -v[0:1]
	s_delay_alu instid0(VALU_DEP_4) | instskip(NEXT) | instid1(VALU_DEP_4)
	v_fma_f64 v[0:1], -v[27:28], v[19:20], v[2:3]
	v_fma_f64 v[2:3], v[29:30], v[19:20], v[6:7]
	s_delay_alu instid0(VALU_DEP_4) | instskip(NEXT) | instid1(VALU_DEP_4)
	v_fma_f64 v[6:7], v[27:28], v[19:20], v[8:9]
	v_fma_f64 v[8:9], v[29:30], v[19:20], v[21:22]
	ds_store_b128 v112, v[0:3] offset:11664
	ds_store_b128 v10, v[6:9] offset:27216
	ds_load_b128 v[0:3], v112 offset:12960
	ds_load_b128 v[6:9], v10 offset:25920
	global_load_b128 v[19:22], v[23:24], off offset:3264
	s_waitcnt lgkmcnt(0)
	v_add_f64 v[23:24], v[0:1], v[6:7]
	v_add_f64 v[25:26], v[8:9], v[2:3]
	v_add_f64 v[27:28], v[0:1], -v[6:7]
	v_add_f64 v[0:1], v[2:3], -v[8:9]
	s_waitcnt vmcnt(2)
	s_delay_alu instid0(VALU_DEP_2) | instskip(NEXT) | instid1(VALU_DEP_2)
	v_fma_f64 v[2:3], v[27:28], v[17:18], v[23:24]
	v_fma_f64 v[6:7], v[25:26], v[17:18], v[0:1]
	v_fma_f64 v[8:9], -v[27:28], v[17:18], v[23:24]
	v_fma_f64 v[17:18], v[25:26], v[17:18], -v[0:1]
	v_add_co_u32 v23, s0, 0x4000, v4
	s_delay_alu instid0(VALU_DEP_1)
	v_add_co_ci_u32_e64 v24, s0, 0, v5, s0
	s_mov_b32 s0, 0x4755a5e
	s_mov_b32 s1, 0x3fe2cf23
	;; [unrolled: 1-line block ×3, first 2 shown]
	v_fma_f64 v[0:1], -v[25:26], v[15:16], v[2:3]
	v_fma_f64 v[2:3], v[27:28], v[15:16], v[6:7]
	v_fma_f64 v[6:7], v[25:26], v[15:16], v[8:9]
	;; [unrolled: 1-line block ×3, first 2 shown]
	ds_store_b128 v112, v[0:3] offset:12960
	ds_store_b128 v10, v[6:9] offset:25920
	ds_load_b128 v[0:3], v112 offset:14256
	ds_load_b128 v[6:9], v10 offset:24624
	global_load_b128 v[15:18], v[23:24], off offset:464
	s_waitcnt lgkmcnt(0)
	v_add_f64 v[4:5], v[0:1], v[6:7]
	v_add_f64 v[25:26], v[8:9], v[2:3]
	v_add_f64 v[6:7], v[0:1], -v[6:7]
	v_add_f64 v[0:1], v[2:3], -v[8:9]
	s_waitcnt vmcnt(2)
	s_delay_alu instid0(VALU_DEP_2) | instskip(NEXT) | instid1(VALU_DEP_2)
	v_fma_f64 v[2:3], v[6:7], v[13:14], v[4:5]
	v_fma_f64 v[8:9], v[25:26], v[13:14], v[0:1]
	v_fma_f64 v[4:5], -v[6:7], v[13:14], v[4:5]
	v_fma_f64 v[13:14], v[25:26], v[13:14], -v[0:1]
	s_delay_alu instid0(VALU_DEP_4) | instskip(NEXT) | instid1(VALU_DEP_4)
	v_fma_f64 v[0:1], -v[25:26], v[11:12], v[2:3]
	v_fma_f64 v[2:3], v[6:7], v[11:12], v[8:9]
	s_delay_alu instid0(VALU_DEP_4) | instskip(NEXT) | instid1(VALU_DEP_4)
	v_fma_f64 v[4:5], v[25:26], v[11:12], v[4:5]
	v_fma_f64 v[6:7], v[6:7], v[11:12], v[13:14]
	ds_store_b128 v112, v[0:3] offset:14256
	ds_store_b128 v10, v[4:7] offset:24624
	ds_load_b128 v[0:3], v112 offset:15552
	ds_load_b128 v[4:7], v10 offset:23328
	global_load_b128 v[11:14], v[23:24], off offset:1760
	s_waitcnt lgkmcnt(0)
	v_add_f64 v[8:9], v[0:1], v[4:5]
	v_add_f64 v[23:24], v[6:7], v[2:3]
	v_add_f64 v[25:26], v[0:1], -v[4:5]
	v_add_f64 v[0:1], v[2:3], -v[6:7]
	s_waitcnt vmcnt(2)
	s_delay_alu instid0(VALU_DEP_2) | instskip(NEXT) | instid1(VALU_DEP_2)
	v_fma_f64 v[2:3], v[25:26], v[21:22], v[8:9]
	v_fma_f64 v[4:5], v[23:24], v[21:22], v[0:1]
	v_fma_f64 v[6:7], -v[25:26], v[21:22], v[8:9]
	v_fma_f64 v[8:9], v[23:24], v[21:22], -v[0:1]
	s_delay_alu instid0(VALU_DEP_4) | instskip(NEXT) | instid1(VALU_DEP_4)
	v_fma_f64 v[0:1], -v[23:24], v[19:20], v[2:3]
	v_fma_f64 v[2:3], v[25:26], v[19:20], v[4:5]
	s_delay_alu instid0(VALU_DEP_4) | instskip(NEXT) | instid1(VALU_DEP_4)
	v_fma_f64 v[4:5], v[23:24], v[19:20], v[6:7]
	v_fma_f64 v[6:7], v[25:26], v[19:20], v[8:9]
	ds_store_b128 v112, v[0:3] offset:15552
	ds_store_b128 v10, v[4:7] offset:23328
	ds_load_b128 v[0:3], v112 offset:16848
	ds_load_b128 v[4:7], v10 offset:22032
	s_waitcnt lgkmcnt(0)
	v_add_f64 v[8:9], v[0:1], v[4:5]
	v_add_f64 v[19:20], v[6:7], v[2:3]
	v_add_f64 v[21:22], v[0:1], -v[4:5]
	v_add_f64 v[0:1], v[2:3], -v[6:7]
	s_waitcnt vmcnt(1)
	s_delay_alu instid0(VALU_DEP_2) | instskip(NEXT) | instid1(VALU_DEP_2)
	v_fma_f64 v[2:3], v[21:22], v[17:18], v[8:9]
	v_fma_f64 v[4:5], v[19:20], v[17:18], v[0:1]
	v_fma_f64 v[6:7], -v[21:22], v[17:18], v[8:9]
	v_fma_f64 v[8:9], v[19:20], v[17:18], -v[0:1]
	s_delay_alu instid0(VALU_DEP_4) | instskip(NEXT) | instid1(VALU_DEP_4)
	v_fma_f64 v[0:1], -v[19:20], v[15:16], v[2:3]
	v_fma_f64 v[2:3], v[21:22], v[15:16], v[4:5]
	s_delay_alu instid0(VALU_DEP_4) | instskip(NEXT) | instid1(VALU_DEP_4)
	v_fma_f64 v[4:5], v[19:20], v[15:16], v[6:7]
	v_fma_f64 v[6:7], v[21:22], v[15:16], v[8:9]
	ds_store_b128 v112, v[0:3] offset:16848
	ds_store_b128 v10, v[4:7] offset:22032
	ds_load_b128 v[0:3], v112 offset:18144
	ds_load_b128 v[4:7], v10 offset:20736
	s_waitcnt lgkmcnt(0)
	v_add_f64 v[8:9], v[0:1], v[4:5]
	v_add_f64 v[15:16], v[6:7], v[2:3]
	v_add_f64 v[17:18], v[0:1], -v[4:5]
	v_add_f64 v[0:1], v[2:3], -v[6:7]
	s_waitcnt vmcnt(0)
	s_delay_alu instid0(VALU_DEP_2) | instskip(NEXT) | instid1(VALU_DEP_2)
	v_fma_f64 v[2:3], v[17:18], v[13:14], v[8:9]
	v_fma_f64 v[4:5], v[15:16], v[13:14], v[0:1]
	v_fma_f64 v[6:7], -v[17:18], v[13:14], v[8:9]
	v_fma_f64 v[8:9], v[15:16], v[13:14], -v[0:1]
	s_delay_alu instid0(VALU_DEP_4) | instskip(NEXT) | instid1(VALU_DEP_4)
	v_fma_f64 v[0:1], -v[15:16], v[11:12], v[2:3]
	v_fma_f64 v[2:3], v[17:18], v[11:12], v[4:5]
	s_delay_alu instid0(VALU_DEP_4) | instskip(NEXT) | instid1(VALU_DEP_4)
	v_fma_f64 v[4:5], v[15:16], v[11:12], v[6:7]
	v_fma_f64 v[6:7], v[17:18], v[11:12], v[8:9]
	v_mul_u32_u24_e32 v8, 10, v80
	scratch_store_b32 off, v8, off offset:4 ; 4-byte Folded Spill
	v_add_nc_u32_e32 v8, 0x51, v80
	scratch_store_b32 off, v8, off offset:104 ; 4-byte Folded Spill
	v_add_nc_u32_e32 v8, 0xa2, v80
	;; [unrolled: 2-line block ×5, first 2 shown]
	s_clause 0x1
	scratch_store_b32 off, v81, off offset:96
	scratch_store_b32 off, v8, off
	ds_store_b128 v112, v[0:3] offset:18144
	ds_store_b128 v10, v[4:7] offset:20736
	s_waitcnt lgkmcnt(0)
	s_waitcnt_vscnt null, 0x0
	s_barrier
	buffer_gl0_inv
	s_barrier
	buffer_gl0_inv
	ds_load_b128 v[61:64], v112
	ds_load_b128 v[76:79], v112 offset:1296
	ds_load_b128 v[46:49], v112 offset:7776
	;; [unrolled: 1-line block ×29, first 2 shown]
	s_waitcnt lgkmcnt(23)
	v_add_f64 v[40:41], v[71:72], -v[98:99]
	s_waitcnt lgkmcnt(22)
	v_add_f64 v[214:215], v[86:87], v[26:27]
	s_waitcnt lgkmcnt(20)
	v_add_f64 v[220:221], v[67:68], v[2:3]
	v_add_f64 v[73:74], v[61:62], v[46:47]
	;; [unrolled: 1-line block ×3, first 2 shown]
	s_waitcnt lgkmcnt(17)
	v_add_f64 v[156:157], v[88:89], v[92:93]
	v_add_f64 v[158:159], v[90:91], v[94:95]
	s_waitcnt lgkmcnt(15)
	v_add_f64 v[186:187], v[92:93], -v[119:120]
	v_add_f64 v[188:189], v[119:120], -v[92:93]
	;; [unrolled: 1-line block ×4, first 2 shown]
	s_waitcnt lgkmcnt(11)
	v_add_f64 v[56:57], v[94:95], -v[22:23]
	s_waitcnt lgkmcnt(7)
	v_add_f64 v[222:223], v[132:133], v[140:141]
	v_add_f64 v[196:197], v[92:93], v[20:21]
	v_add_f64 v[58:59], v[92:93], -v[20:21]
	v_add_f64 v[92:93], v[94:95], v[22:23]
	v_add_f64 v[94:95], v[76:77], v[65:66]
	;; [unrolled: 1-line block ×7, first 2 shown]
	v_add_f64 v[174:175], v[48:49], -v[71:72]
	v_add_f64 v[176:177], v[71:72], -v[48:49]
	v_add_f64 v[180:181], v[48:49], v[14:15]
	v_add_f64 v[208:209], v[84:85], v[24:25]
	;; [unrolled: 1-line block ×3, first 2 shown]
	s_waitcnt lgkmcnt(3)
	v_add_f64 v[226:227], v[148:149], v[36:37]
	s_waitcnt lgkmcnt(1)
	v_add_f64 v[230:231], v[140:141], v[16:17]
	v_add_f64 v[44:45], v[48:49], -v[14:15]
	v_add_f64 v[184:185], v[119:120], v[128:129]
	v_add_f64 v[48:49], v[119:120], -v[128:129]
	v_add_f64 v[182:183], v[98:99], -v[14:15]
	;; [unrolled: 1-line block ×3, first 2 shown]
	v_add_f64 v[190:191], v[121:122], v[130:131]
	v_add_f64 v[198:199], v[20:21], -v[128:129]
	v_add_f64 v[206:207], v[130:131], -v[22:23]
	v_add_f64 v[212:213], v[84:85], -v[65:66]
	v_add_f64 v[228:229], v[150:151], v[38:39]
	v_fma_f64 v[214:215], v[214:215], -0.5, v[78:79]
	v_fma_f64 v[220:221], v[220:221], -0.5, v[78:79]
	v_add_f64 v[254:255], v[73:74], v[69:70]
	v_add_f64 v[72:73], v[108:109], v[71:72]
	;; [unrolled: 1-line block ×10, first 2 shown]
	scratch_store_b64 off, v[40:41], off offset:108 ; 8-byte Folded Spill
	v_add_f64 v[40:41], v[69:70], -v[96:97]
	v_add_f64 v[82:83], v[86:87], -v[67:68]
	;; [unrolled: 1-line block ×5, first 2 shown]
	v_fma_f64 v[158:159], v[160:161], -0.5, v[61:62]
	v_fma_f64 v[160:161], v[166:167], -0.5, v[61:62]
	;; [unrolled: 1-line block ×3, first 2 shown]
	v_add_f64 v[170:171], v[96:97], -v[12:13]
	v_add_f64 v[50:51], v[86:87], -v[26:27]
	v_fma_f64 v[172:173], v[180:181], -0.5, v[63:64]
	v_add_f64 v[180:181], v[26:27], -v[2:3]
	v_add_f64 v[63:64], v[136:137], v[144:145]
	v_fma_f64 v[208:209], v[208:209], -0.5, v[76:77]
	v_fma_f64 v[218:219], v[218:219], -0.5, v[76:77]
	v_add_f64 v[76:77], v[142:143], -v[150:151]
	v_fma_f64 v[226:227], v[226:227], -0.5, v[132:133]
	v_fma_f64 v[230:231], v[230:231], -0.5, v[132:133]
	v_add_f64 v[132:133], v[18:19], -v[38:39]
	v_add_f64 v[210:211], v[65:66], -v[84:85]
	;; [unrolled: 1-line block ×4, first 2 shown]
	v_add_f64 v[238:239], v[123:124], v[28:29]
	v_add_f64 v[246:247], v[152:153], v[32:33]
	v_add_f64 v[74:75], v[150:151], -v[38:39]
	v_add_f64 v[61:62], v[140:141], -v[148:149]
	v_fma_f64 v[184:185], v[184:185], -0.5, v[88:89]
	v_fma_f64 v[196:197], v[196:197], -0.5, v[88:89]
	v_add_f64 v[222:223], v[72:73], v[98:99]
	v_add_f64 v[72:73], v[108:109], v[128:129]
	v_fma_f64 v[190:191], v[190:191], -0.5, v[90:91]
	v_add_f64 v[110:111], v[148:149], -v[140:141]
	v_add_f64 v[88:89], v[148:149], -v[36:37]
	v_fma_f64 v[228:229], v[228:229], -0.5, v[134:135]
	v_fma_f64 v[232:233], v[232:233], -0.5, v[134:135]
	v_fma_f64 v[240:241], v[240:241], -0.5, v[102:103]
	scratch_store_b64 off, v[78:79], off offset:140 ; 8-byte Folded Spill
	v_add_f64 v[78:79], v[224:225], v[150:151]
	scratch_store_b64 off, v[40:41], off offset:116 ; 8-byte Folded Spill
	v_add_f64 v[40:41], v[94:95], v[84:85]
	v_fma_f64 v[84:85], v[92:93], -0.5, v[90:91]
	v_add_f64 v[150:151], v[150:151], -v[142:143]
	v_add_f64 v[92:93], v[142:143], -v[18:19]
	;; [unrolled: 1-line block ×3, first 2 shown]
	v_fma_f64 v[244:245], v[244:245], -0.5, v[102:103]
	v_add_f64 v[134:135], v[104:105], -v[123:124]
	v_add_f64 v[148:149], v[123:124], -v[104:105]
	;; [unrolled: 1-line block ×4, first 2 shown]
	v_add_f64 v[234:235], v[234:235], v[123:124]
	v_add_f64 v[236:237], v[236:237], v[125:126]
	v_add_f64 v[123:124], v[125:126], -v[106:107]
	v_add_f64 v[102:103], v[106:107], -v[6:7]
	v_add_f64 v[254:255], v[254:255], v[96:97]
	v_add_f64 v[113:114], v[144:145], -v[152:153]
	v_add_f64 v[106:107], v[152:153], -v[32:33]
	v_add_f64 v[108:109], v[186:187], v[198:199]
	v_add_f64 v[141:142], v[176:177], v[182:183]
	scratch_load_b32 v198, off, off offset:56 ; 4-byte Folded Reload
	v_add_f64 v[176:177], v[194:195], v[206:207]
	scratch_load_b32 v195, off, off offset:40 ; 4-byte Folded Reload
	v_add_f64 v[96:97], v[76:77], v[132:133]
	v_add_f64 v[76:77], v[82:83], v[180:181]
	scratch_load_b32 v83, off, off offset:12 ; 4-byte Folded Reload
	v_add_f64 v[168:169], v[69:70], -v[46:47]
	v_add_f64 v[202:203], v[128:129], -v[20:21]
	;; [unrolled: 1-line block ×3, first 2 shown]
	scratch_store_b64 off, v[72:73], off offset:156 ; 8-byte Folded Spill
	v_add_f64 v[72:73], v[212:213], v[121:122]
	scratch_load_b32 v121, off, off         ; 4-byte Folded Reload
	v_add_f64 v[162:163], v[46:47], -v[69:70]
	s_waitcnt lgkmcnt(0)
	v_add_f64 v[248:249], v[144:145], v[8:9]
	v_add_f64 v[250:251], v[154:155], v[34:35]
	;; [unrolled: 1-line block ×3, first 2 shown]
	v_add_f64 v[46:47], v[46:47], -v[12:13]
	scratch_store_b64 off, v[78:79], off offset:148 ; 8-byte Folded Spill
	v_add_f64 v[178:179], v[14:15], -v[98:99]
	scratch_store_b64 off, v[40:41], off offset:124 ; 8-byte Folded Spill
	v_add_f64 v[40:41], v[200:201], v[86:87]
	v_add_f64 v[200:201], v[119:120], v[130:131]
	scratch_load_b32 v131, off, off offset:104 ; 4-byte Folded Reload
	v_add_f64 v[86:87], v[125:126], -v[30:31]
	v_add_f64 v[125:126], v[152:153], -v[144:145]
	v_add_f64 v[152:153], v[63:64], v[152:153]
	scratch_load_b32 v63, off, off offset:4 ; 4-byte Folded Reload
	v_add_f64 v[68:69], v[67:68], -v[2:3]
	v_add_f64 v[143:144], v[144:145], -v[8:9]
	v_add_f64 v[98:99], v[192:193], v[204:205]
	v_and_b32_e32 v145, 0xffff, v43
	v_fma_f64 v[246:247], v[246:247], -0.5, v[136:137]
	v_add_f64 v[70:71], v[65:66], -v[0:1]
	v_add_f64 v[12:13], v[254:255], v[12:13]
	v_add_f64 v[65:66], v[0:1], -v[24:25]
	v_add_f64 v[156:157], v[2:3], -v[26:27]
	v_add_f64 v[242:243], v[104:105], v[4:5]
	v_add_f64 v[117:118], v[146:147], -v[154:155]
	v_add_f64 v[182:183], v[10:11], -v[34:35]
	;; [unrolled: 1-line block ×3, first 2 shown]
	v_fma_f64 v[238:239], v[238:239], -0.5, v[100:101]
	v_add_f64 v[192:193], v[34:35], -v[10:11]
	v_fma_f64 v[212:213], v[50:51], s[2:3], v[218:219]
	v_add_f64 v[14:15], v[222:223], v[14:15]
	v_add_f64 v[78:79], v[168:169], v[170:171]
	;; [unrolled: 1-line block ×3, first 2 shown]
	v_mov_b32_e32 v202, v43
	v_mov_b32_e32 v199, v127
	v_and_b32_e32 v43, 0xffff, v42
	v_mov_b32_e32 v203, v42
	v_add_f64 v[188:189], v[30:31], -v[6:7]
	scratch_store_b32 off, v202, off offset:52 ; 4-byte Folded Spill
	v_and_b32_e32 v127, 0xffff, v199
	v_fma_f64 v[248:249], v[248:249], -0.5, v[136:137]
	v_fma_f64 v[250:251], v[250:251], -0.5, v[138:139]
	;; [unrolled: 1-line block ×3, first 2 shown]
	v_mul_u32_u24_e32 v194, 0xcccd, v43
	v_add_f64 v[170:171], v[28:29], -v[4:5]
	scratch_store_b64 off, v[40:41], off offset:132 ; 8-byte Folded Spill
	v_add_f64 v[40:41], v[138:139], v[146:147]
	v_add_f64 v[137:138], v[162:163], v[164:165]
	v_add_f64 v[163:164], v[38:39], -v[18:19]
	v_add_f64 v[139:140], v[174:175], v[178:179]
	v_add_f64 v[174:175], v[4:5], -v[28:29]
	v_add_f64 v[178:179], v[6:7], -v[30:31]
	v_add_f64 v[28:29], v[234:235], v[28:29]
	v_add_f64 v[30:31], v[236:237], v[30:31]
	;; [unrolled: 1-line block ×3, first 2 shown]
	v_fma_f64 v[200:201], v[54:55], s[2:3], v[220:221]
	v_fma_f64 v[222:223], v[92:93], s[10:11], v[226:227]
	;; [unrolled: 1-line block ×5, first 2 shown]
	scratch_store_b32 off, v203, off offset:60 ; 4-byte Folded Spill
	v_fma_f64 v[242:243], v[242:243], -0.5, v[100:101]
	v_add_f64 v[100:101], v[104:105], -v[4:5]
	v_add_f64 v[104:105], v[154:155], -v[34:35]
	v_add_f64 v[113:114], v[113:114], v[186:187]
	v_fma_f64 v[186:187], v[52:53], s[2:3], v[196:197]
	scratch_store_b32 off, v127, off offset:84 ; 4-byte Folded Spill
	v_add_f64 v[123:124], v[123:124], v[188:189]
	v_fma_f64 v[188:189], v[58:59], s[2:3], v[190:191]
	v_add_f64 v[148:149], v[148:149], v[170:171]
	v_fma_f64 v[170:171], v[46:47], s[10:11], v[166:167]
	v_add_f64 v[119:120], v[40:41], v[154:155]
	v_add_f64 v[40:41], v[36:37], -v[16:17]
	v_add_f64 v[154:155], v[154:155], -v[146:147]
	;; [unrolled: 1-line block ×3, first 2 shown]
	v_fma_f64 v[165:166], v[46:47], s[2:3], v[166:167]
	v_add_f64 v[115:116], v[115:116], v[178:179]
	v_fma_f64 v[178:179], v[52:53], s[10:11], v[196:197]
	v_add_f64 v[28:29], v[28:29], v[4:5]
	v_add_f64 v[30:31], v[30:31], v[6:7]
	v_fma_f64 v[4:5], v[106:107], s[2:3], v[252:253]
	v_fma_f64 v[196:197], v[68:69], s[2:3], v[208:209]
	;; [unrolled: 1-line block ×5, first 2 shown]
	v_add_f64 v[34:35], v[119:120], v[34:35]
	v_add_f64 v[40:41], v[110:111], v[40:41]
	;; [unrolled: 1-line block ×4, first 2 shown]
	v_mul_u32_u24_e32 v135, 0xcccd, v145
	v_mul_u32_u24_e32 v134, 0xcccd, v127
	v_fma_f64 v[119:120], v[56:57], s[2:3], v[184:185]
	v_add_f64 v[163:164], v[117:118], v[182:183]
	v_fma_f64 v[174:175], v[48:49], s[2:3], v[84:85]
	v_fma_f64 v[84:85], v[48:49], s[10:11], v[84:85]
	;; [unrolled: 1-line block ×3, first 2 shown]
	v_add_f64 v[154:155], v[154:155], v[192:193]
	v_fma_f64 v[192:193], v[94:95], s[10:11], v[228:229]
	v_lshrrev_b32_e32 v134, 19, v134
	v_add_f64 v[34:35], v[34:35], v[10:11]
	v_fma_f64 v[10:11], v[104:105], s[2:3], v[248:249]
	v_fma_f64 v[119:120], v[52:53], s[0:1], v[119:120]
	;; [unrolled: 1-line block ×5, first 2 shown]
	s_delay_alu instid0(VALU_DEP_4) | instskip(NEXT) | instid1(VALU_DEP_4)
	v_fma_f64 v[119:120], v[108:109], s[12:13], v[119:120]
	v_fma_f64 v[174:175], v[176:177], s[12:13], v[174:175]
	s_delay_alu instid0(VALU_DEP_4)
	v_fma_f64 v[52:53], v[108:109], s[12:13], v[52:53]
	s_waitcnt vmcnt(4)
	v_mov_b32_e32 v255, v195
	v_dual_mov_b32 v204, v60 :: v_dual_and_b32 v129, 0xff, v198
	scratch_store_b64 off, v[80:81], off offset:64 ; 8-byte Folded Spill
	v_mul_lo_u16 v67, 0xcd, v81
	v_and_b32_e32 v81, 0xffff, v60
	v_add_f64 v[60:61], v[61:62], v[224:225]
	s_waitcnt vmcnt(3)
	v_and_b32_e32 v122, 0xffff, v83
	v_and_b32_e32 v128, 0xffff, v195
	s_waitcnt vmcnt(2)
	v_and_b32_e32 v42, 0xffff, v121
	v_lshrrev_b16 v82, 11, v67
	s_clause 0x7
	scratch_store_b32 off, v129, off offset:48
	scratch_store_b32 off, v204, off offset:44
	;; [unrolled: 1-line block ×8, first 2 shown]
	v_mul_u32_u24_e32 v162, 0xcccd, v42
	s_waitcnt vmcnt(1)
	v_and_b32_e32 v130, 0xff, v131
	v_mul_lo_u16 v145, v82, 10
	scratch_store_b32 off, v81, off offset:92 ; 4-byte Folded Spill
	v_mul_u32_u24_e32 v132, 0xcccd, v81
	v_mul_u32_u24_e32 v133, 0xcccd, v128
	v_mul_lo_u16 v62, 0xcd, v130
	s_waitcnt vmcnt(0)
	v_lshl_add_u32 v136, v63, 4, 0
	v_add_f64 v[63:64], v[210:211], v[65:66]
	v_add_f64 v[65:66], v[216:217], v[156:157]
	v_add_f64 v[156:157], v[32:33], -v[8:9]
	v_lshrrev_b16 v42, 11, v62
	s_clause 0x1
	scratch_store_b32 off, v130, off offset:100
	scratch_store_b32 off, v128, off offset:88
	v_sub_nc_u16 v62, v80, v145
	v_add_f64 v[32:33], v[152:153], v[32:33]
	scratch_store_b32 off, v42, off offset:80 ; 4-byte Folded Spill
	v_mul_lo_u16 v130, v42, 10
	scratch_load_b64 v[42:43], off, off offset:124 ; 8-byte Folded Reload
	v_fma_f64 v[152:153], v[58:59], s[10:11], v[190:191]
	v_fma_f64 v[190:191], v[92:93], s[2:3], v[226:227]
	;; [unrolled: 1-line block ×9, first 2 shown]
	v_mul_lo_u16 v67, 0xcd, v129
	v_mul_u32_u24_e32 v129, 0xcccd, v122
	v_and_b32_e32 v82, 0xff, v62
	v_lshrrev_b32_e32 v132, 19, v132
	v_lshrrev_b32_e32 v133, 19, v133
	v_lshrrev_b16 v122, 11, v67
	s_clause 0x1
	scratch_load_b64 v[80:81], off, off offset:116
	scratch_load_b64 v[127:128], off, off offset:156
	v_add_f64 v[117:118], v[125:126], v[156:157]
	v_fma_f64 v[156:157], v[44:45], s[2:3], v[158:159]
	v_fma_f64 v[158:159], v[44:45], s[10:11], v[158:159]
	;; [unrolled: 1-line block ×4, first 2 shown]
	v_add_f64 v[32:33], v[32:33], v[8:9]
	v_fma_f64 v[8:9], v[86:87], s[10:11], v[242:243]
	v_fma_f64 v[152:153], v[48:49], s[6:7], v[152:153]
	;; [unrolled: 1-line block ×8, first 2 shown]
	s_delay_alu instid0(VALU_DEP_4)
	v_fma_f64 v[125:126], v[110:111], s[12:13], v[125:126]
	s_waitcnt vmcnt(2)
	v_add_f64 v[24:25], v[42:43], v[24:25]
	scratch_load_b64 v[42:43], off, off offset:132 ; 8-byte Folded Reload
	s_waitcnt vmcnt(2)
	v_fma_f64 v[182:183], v[80:81], s[2:3], v[172:173]
	v_fma_f64 v[172:173], v[80:81], s[10:11], v[172:173]
	s_waitcnt vmcnt(1)
	v_add_f64 v[20:21], v[127:128], v[20:21]
	v_fma_f64 v[127:128], v[50:51], s[10:11], v[218:219]
	v_fma_f64 v[218:219], v[74:75], s[2:3], v[230:231]
	;; [unrolled: 1-line block ×3, first 2 shown]
	v_add_f64 v[24:25], v[24:25], v[0:1]
	v_fma_f64 v[0:1], v[146:147], s[2:3], v[246:247]
	v_fma_f64 v[127:128], v[68:69], s[0:1], v[127:128]
	;; [unrolled: 1-line block ×4, first 2 shown]
	s_waitcnt vmcnt(0)
	v_add_f64 v[26:27], v[42:43], v[26:27]
	scratch_load_b64 v[42:43], off, off offset:140 ; 8-byte Folded Reload
	v_add_f64 v[26:27], v[26:27], v[2:3]
	v_fma_f64 v[2:3], v[143:144], s[10:11], v[250:251]
	s_delay_alu instid0(VALU_DEP_1) | instskip(SKIP_2) | instid1(VALU_DEP_2)
	v_fma_f64 v[188:189], v[106:107], s[6:7], v[2:3]
	v_fma_f64 v[106:107], v[106:107], s[0:1], v[230:231]
	v_add_f64 v[2:3], v[14:15], v[22:23]
	v_fma_f64 v[106:107], v[163:164], s[12:13], v[106:107]
	s_delay_alu instid0(VALU_DEP_4)
	v_fma_f64 v[163:164], v[163:164], s[12:13], v[188:189]
	s_waitcnt vmcnt(0)
	v_add_f64 v[36:37], v[42:43], v[36:37]
	scratch_load_b64 v[42:43], off, off offset:148 ; 8-byte Folded Reload
	v_add_f64 v[16:17], v[36:37], v[16:17]
	v_fma_f64 v[36:37], v[102:103], s[2:3], v[238:239]
	v_fma_f64 v[238:239], v[102:103], s[10:11], v[238:239]
	s_delay_alu instid0(VALU_DEP_2) | instskip(NEXT) | instid1(VALU_DEP_2)
	v_fma_f64 v[36:37], v[86:87], s[0:1], v[36:37]
	v_fma_f64 v[86:87], v[86:87], s[6:7], v[238:239]
	s_delay_alu instid0(VALU_DEP_1)
	v_fma_f64 v[86:87], v[150:151], s[12:13], v[86:87]
	s_waitcnt vmcnt(0)
	v_add_f64 v[38:39], v[42:43], v[38:39]
	scratch_load_b64 v[42:43], off, off offset:108 ; 8-byte Folded Reload
	s_waitcnt vmcnt(0)
	s_waitcnt_vscnt null, 0x0
	s_barrier
	buffer_gl0_inv
	v_add_f64 v[18:19], v[38:39], v[18:19]
	v_fma_f64 v[38:39], v[100:101], s[10:11], v[240:241]
	v_fma_f64 v[240:241], v[100:101], s[2:3], v[240:241]
	;; [unrolled: 1-line block ×3, first 2 shown]
	s_delay_alu instid0(VALU_DEP_3) | instskip(NEXT) | instid1(VALU_DEP_3)
	v_fma_f64 v[38:39], v[90:91], s[6:7], v[38:39]
	v_fma_f64 v[90:91], v[90:91], s[0:1], v[240:241]
	;; [unrolled: 1-line block ×18, first 2 shown]
	v_add_f64 v[4:5], v[12:13], -v[20:21]
	v_add_f64 v[6:7], v[14:15], -v[22:23]
	v_add_f64 v[8:9], v[24:25], v[16:17]
	v_add_f64 v[10:11], v[26:27], v[18:19]
	v_add_f64 v[14:15], v[26:27], -v[18:19]
	v_fma_f64 v[26:27], v[110:111], s[12:13], v[94:95]
	v_add_f64 v[18:19], v[30:31], v[34:35]
	v_add_f64 v[22:23], v[30:31], -v[34:35]
	v_fma_f64 v[50:51], v[50:51], s[6:7], v[207:208]
	v_fma_f64 v[102:103], v[102:103], s[6:7], v[234:235]
	;; [unrolled: 1-line block ×13, first 2 shown]
	v_add_f64 v[0:1], v[12:13], v[20:21]
	v_add_f64 v[12:13], v[24:25], -v[16:17]
	v_fma_f64 v[178:179], v[54:55], s[6:7], v[205:206]
	v_fma_f64 v[94:95], v[117:118], s[12:13], v[192:193]
	;; [unrolled: 1-line block ×3, first 2 shown]
	v_add_f64 v[16:17], v[28:29], v[32:33]
	v_add_f64 v[20:21], v[28:29], -v[32:33]
	v_mul_f64 v[28:29], v[174:175], s[2:3]
	v_fma_f64 v[32:33], v[137:138], s[12:13], v[84:85]
	v_fma_f64 v[54:55], v[54:55], s[0:1], v[214:215]
	;; [unrolled: 1-line block ×3, first 2 shown]
	v_mul_f64 v[137:138], v[125:126], s[2:3]
	v_fma_f64 v[34:35], v[139:140], s[12:13], v[156:157]
	v_fma_f64 v[139:140], v[139:140], s[12:13], v[42:43]
	;; [unrolled: 1-line block ×19, first 2 shown]
	v_mul_f64 v[113:114], v[119:120], s[14:15]
	v_mul_f64 v[117:118], v[119:120], s[6:7]
	;; [unrolled: 1-line block ×7, first 2 shown]
	v_fma_f64 v[145:146], v[141:142], s[12:13], v[160:161]
	v_mul_f64 v[160:161], v[26:27], s[12:13]
	v_fma_f64 v[165:166], v[65:66], s[12:13], v[178:179]
	v_mul_f64 v[180:181], v[94:95], s[10:11]
	v_mul_f64 v[186:187], v[110:111], s[12:13]
	;; [unrolled: 1-line block ×14, first 2 shown]
	v_fma_f64 v[113:114], v[88:89], s[0:1], v[113:114]
	v_fma_f64 v[88:89], v[88:89], s[14:15], v[117:118]
	;; [unrolled: 1-line block ×3, first 2 shown]
	v_fma_f64 v[56:57], v[56:57], s[10:11], -v[119:120]
	v_fma_f64 v[119:120], v[65:66], s[12:13], v[54:55]
	v_fma_f64 v[54:55], v[48:49], s[0:1], -v[152:153]
	v_fma_f64 v[117:118], v[72:73], s[12:13], v[127:128]
	v_fma_f64 v[127:128], v[76:77], s[12:13], v[184:185]
	;; [unrolled: 1-line block ×9, first 2 shown]
	v_fma_f64 v[158:159], v[98:99], s[10:11], -v[186:187]
	v_fma_f64 v[173:174], v[174:175], s[12:13], v[30:31]
	v_fma_f64 v[58:59], v[58:59], s[2:3], -v[84:85]
	v_fma_f64 v[84:85], v[63:64], s[12:13], v[50:51]
	;; [unrolled: 2-line block ×3, first 2 shown]
	v_fma_f64 v[70:71], v[125:126], s[12:13], v[141:142]
	v_fma_f64 v[76:77], v[26:27], s[2:3], -v[42:43]
	v_fma_f64 v[78:79], v[24:25], s[10:11], -v[160:161]
	;; [unrolled: 1-line block ×4, first 2 shown]
	v_fma_f64 v[154:155], v[115:116], s[12:13], v[38:39]
	v_fma_f64 v[125:126], v[148:149], s[12:13], v[102:103]
	;; [unrolled: 1-line block ×6, first 2 shown]
	v_fma_f64 v[110:111], v[110:111], s[2:3], -v[182:183]
	v_fma_f64 v[115:116], v[115:116], s[12:13], v[90:91]
	v_fma_f64 v[160:161], v[106:107], s[0:1], -v[188:189]
	v_fma_f64 v[163:164], v[104:105], s[6:7], -v[190:191]
	v_add_f64 v[24:25], v[32:33], v[113:114]
	v_add_f64 v[26:27], v[34:35], v[88:89]
	v_add_f64 v[28:29], v[32:33], -v[113:114]
	v_add_f64 v[30:31], v[34:35], -v[88:89]
	v_add_f64 v[32:33], v[143:144], v[171:172]
	v_add_f64 v[42:43], v[46:47], v[56:57]
	;; [unrolled: 1-line block ×3, first 2 shown]
	v_add_f64 v[36:37], v[143:144], -v[171:172]
	v_add_f64 v[46:47], v[46:47], -v[56:57]
	;; [unrolled: 1-line block ×3, first 2 shown]
	v_add_f64 v[143:144], v[123:124], v[158:159]
	v_sub_nc_u16 v80, v131, v130
	v_lshlrev_b32_e32 v81, 5, v82
	s_mov_b32 s2, 0xe8584caa
	s_mov_b32 s3, 0x3febb67a
	;; [unrolled: 1-line block ×4, first 2 shown]
	v_add_f64 v[34:35], v[145:146], v[173:174]
	v_add_f64 v[40:41], v[44:45], v[58:59]
	v_add_f64 v[38:39], v[145:146], -v[173:174]
	v_add_f64 v[50:51], v[139:140], v[62:63]
	v_add_f64 v[44:45], v[44:45], -v[58:59]
	v_add_f64 v[54:55], v[139:140], -v[62:63]
	v_add_f64 v[56:57], v[156:157], v[64:65]
	v_add_f64 v[58:59], v[165:166], v[66:67]
	v_add_f64 v[60:61], v[156:157], -v[64:65]
	v_add_f64 v[62:63], v[165:166], -v[66:67]
	v_add_f64 v[64:65], v[117:118], v[68:69]
	v_add_f64 v[66:67], v[127:128], v[70:71]
	;; [unrolled: 1-line block ×6, first 2 shown]
	v_add_f64 v[68:69], v[117:118], -v[68:69]
	v_add_f64 v[70:71], v[127:128], -v[70:71]
	;; [unrolled: 1-line block ×6, first 2 shown]
	v_add_f64 v[96:97], v[152:153], v[102:103]
	v_add_f64 v[98:99], v[154:155], v[137:138]
	;; [unrolled: 1-line block ×4, first 2 shown]
	v_add_f64 v[100:101], v[152:153], -v[102:103]
	v_add_f64 v[102:103], v[154:155], -v[137:138]
	;; [unrolled: 1-line block ×3, first 2 shown]
	v_add_f64 v[141:142], v[125:126], v[110:111]
	v_add_f64 v[139:140], v[196:197], -v[147:148]
	v_add_f64 v[145:146], v[86:87], v[160:161]
	v_add_f64 v[147:148], v[115:116], v[163:164]
	v_add_f64 v[149:150], v[125:126], -v[110:111]
	v_add_f64 v[151:152], v[123:124], -v[158:159]
	;; [unrolled: 1-line block ×4, first 2 shown]
	v_lshrrev_b32_e32 v84, 19, v135
	v_lshrrev_b32_e32 v85, 19, v194
	;; [unrolled: 1-line block ×3, first 2 shown]
	ds_store_b128 v136, v[0:3]
	ds_store_b128 v136, v[24:27] offset:16
	ds_store_b128 v136, v[32:35] offset:32
	;; [unrolled: 1-line block ×29, first 2 shown]
	v_and_b32_e32 v88, 0xff, v80
	v_mul_lo_u16 v4, v122, 10
	v_lshrrev_b32_e32 v92, 19, v162
	v_mul_lo_u16 v5, v132, 10
	v_mul_lo_u16 v6, v133, 10
	v_lshlrev_b32_e32 v7, 5, v88
	v_mul_lo_u16 v8, v134, 10
	v_sub_nc_u16 v4, v198, v4
	v_mul_lo_u16 v9, v84, 10
	v_mul_lo_u16 v10, v85, 10
	;; [unrolled: 1-line block ×4, first 2 shown]
	s_waitcnt lgkmcnt(0)
	s_barrier
	buffer_gl0_inv
	v_sub_nc_u16 v5, v204, v5
	s_clause 0x1
	global_load_b128 v[48:51], v7, s[4:5]
	global_load_b128 v[68:71], v7, s[4:5] offset:16
	v_and_b32_e32 v97, 0xff, v4
	v_sub_nc_u16 v4, v195, v6
	v_sub_nc_u16 v6, v199, v8
	;; [unrolled: 1-line block ×6, first 2 shown]
	v_and_b32_e32 v98, 0xffff, v5
	v_lshlrev_b32_e32 v5, 5, v97
	v_and_b32_e32 v99, 0xffff, v4
	v_and_b32_e32 v100, 0xffff, v6
	;; [unrolled: 1-line block ×6, first 2 shown]
	v_lshlrev_b32_e32 v4, 5, v98
	s_clause 0x1
	global_load_b128 v[72:75], v5, s[4:5]
	global_load_b128 v[64:67], v5, s[4:5] offset:16
	v_lshlrev_b32_e32 v5, 5, v99
	v_lshlrev_b32_e32 v8, 5, v100
	;; [unrolled: 1-line block ×6, first 2 shown]
	s_clause 0xf
	global_load_b128 v[0:3], v81, s[4:5]
	global_load_b128 v[32:35], v81, s[4:5] offset:16
	global_load_b128 v[56:59], v4, s[4:5]
	global_load_b128 v[52:55], v4, s[4:5] offset:16
	;; [unrolled: 2-line block ×8, first 2 shown]
	s_clause 0x6
	scratch_load_b32 v80, off, off offset:96
	scratch_load_b32 v91, off, off offset:28
	;; [unrolled: 1-line block ×3, first 2 shown]
	scratch_load_b64 v[106:107], off, off offset:64
	scratch_load_b32 v198, off, off offset:88
	scratch_load_b32 v204, off, off offset:84
	;; [unrolled: 1-line block ×3, first 2 shown]
	v_mov_b32_e32 v108, v82
	v_mul_u32_u24_e32 v241, 0x1e0, v85
	v_mov_b32_e32 v203, v131
	ds_load_b128 v[127:130], v112 offset:25920
	v_mul_u32_u24_e32 v242, 0x1e0, v87
	v_lshlrev_b32_e32 v87, 4, v99
	v_lshlrev_b32_e32 v246, 4, v100
	;; [unrolled: 1-line block ×6, first 2 shown]
	ds_load_b128 v[101:104], v112 offset:27216
	v_mul_u32_u24_e32 v109, 0x1e0, v133
	v_mul_u32_u24_e32 v121, 0x1e0, v134
	;; [unrolled: 1-line block ×3, first 2 shown]
	v_mov_b32_e32 v202, v255
	s_delay_alu instid0(VALU_DEP_4) | instskip(SKIP_4) | instid1(VALU_DEP_2)
	v_add3_u32 v254, 0, v109, v87
	s_waitcnt vmcnt(6)
	v_mul_lo_u16 v80, 0x89, v80
	s_waitcnt vmcnt(2)
	v_mul_u32_u24_e32 v81, 0x8889, v198
	v_lshrrev_b16 v199, 12, v80
	scratch_load_b32 v80, off, off offset:100 ; 4-byte Folded Reload
	s_waitcnt vmcnt(2)
	v_mul_u32_u24_e32 v82, 0x8889, v204
	v_lshrrev_b32_e32 v93, 20, v81
	scratch_load_b32 v81, off, off offset:80 ; 4-byte Folded Reload
	v_mul_u32_u24_e32 v111, 0x8889, v91
	scratch_load_b32 v91, off, off offset:24 ; 4-byte Folded Reload
	v_mul_lo_u16 v105, v199, 30
	v_lshrrev_b32_e32 v94, 20, v82
	v_and_b32_e32 v82, 0xffff, v122
	v_mul_u32_u24_e32 v122, 0x1e0, v84
	s_delay_alu instid0(VALU_DEP_2)
	v_mul_u32_u24_e32 v82, 0x1e0, v82
	s_waitcnt vmcnt(2)
	v_mul_lo_u16 v89, 0x89, v80
	scratch_load_b32 v80, off, off offset:48 ; 4-byte Folded Reload
	s_waitcnt vmcnt(2)
	v_and_b32_e32 v81, 0xffff, v81
	v_lshrrev_b16 v195, 12, v89
	s_waitcnt vmcnt(1)
	v_mul_u32_u24_e32 v239, 0x8889, v91
	scratch_load_b32 v91, off, off offset:20 ; 4-byte Folded Reload
	v_mov_b32_e32 v89, v106
	v_mul_u32_u24_e32 v81, 0x1e0, v81
	v_mul_lo_u16 v85, v195, 30
	s_delay_alu instid0(VALU_DEP_3) | instskip(NEXT) | instid1(VALU_DEP_2)
	v_sub_nc_u16 v84, v89, v105
	v_sub_nc_u16 v243, v203, v85
	v_lshlrev_b32_e32 v85, 4, v98
	s_waitcnt vmcnt(1)
	v_mul_lo_u16 v90, 0x89, v80
	v_mul_u32_u24_e32 v80, 0x8889, v86
	s_delay_alu instid0(VALU_DEP_2) | instskip(SKIP_4) | instid1(VALU_DEP_1)
	v_lshrrev_b16 v90, 12, v90
	s_waitcnt vmcnt(0)
	v_mul_u32_u24_e32 v240, 0x8889, v91
	scratch_load_b32 v91, off, off offset:4 ; 4-byte Folded Reload
	v_mul_u32_u24_e32 v83, 0x8889, v83
	v_lshrrev_b32_e32 v95, 20, v83
	v_mul_u32_u24_e32 v83, 0x1e0, v132
	s_delay_alu instid0(VALU_DEP_1) | instskip(SKIP_3) | instid1(VALU_DEP_2)
	v_add3_u32 v253, 0, v83, v85
	s_waitcnt vmcnt(0)
	v_and_b32_e32 v96, 0xffff, v91
	v_lshrrev_b32_e32 v91, 20, v80
	v_mul_u32_u24_e32 v80, 0x1e0, v96
	v_and_b32_e32 v96, 0xff, v84
	v_lshlrev_b32_e32 v84, 4, v108
	ds_load_b128 v[105:108], v112 offset:12960
	v_lshlrev_b32_e32 v244, 5, v96
	v_add3_u32 v245, 0, v80, v84
	v_lshlrev_b32_e32 v84, 4, v97
	ds_load_b128 v[97:100], v112 offset:14256
	v_lshlrev_b32_e32 v80, 4, v88
	ds_load_b128 v[131:134], v112 offset:15552
	ds_load_b128 v[135:138], v112 offset:16848
	;; [unrolled: 1-line block ×4, first 2 shown]
	s_waitcnt lgkmcnt(6)
	v_mul_f64 v[87:88], v[103:104], v[70:71]
	v_mul_f64 v[70:71], v[101:102], v[70:71]
	ds_load_b128 v[147:150], v112 offset:18144
	ds_load_b128 v[151:154], v112 offset:19440
	;; [unrolled: 1-line block ×12, first 2 shown]
	v_add3_u32 v251, 0, v81, v80
	v_add3_u32 v252, 0, v82, v84
	v_mul_f64 v[82:83], v[129:130], v[34:35]
	v_mul_f64 v[34:35], v[127:128], v[34:35]
	s_waitcnt lgkmcnt(17)
	v_mul_f64 v[80:81], v[107:108], v[2:3]
	v_mul_f64 v[2:3], v[105:106], v[2:3]
	s_waitcnt lgkmcnt(15)
	;; [unrolled: 3-line block ×8, first 2 shown]
	v_mul_f64 v[215:216], v[185:186], v[62:63]
	v_mul_f64 v[217:218], v[183:184], v[62:63]
	;; [unrolled: 1-line block ×11, first 2 shown]
	v_fma_f64 v[87:88], v[101:102], v[68:69], -v[87:88]
	v_fma_f64 v[101:102], v[103:104], v[68:69], v[70:71]
	s_waitcnt lgkmcnt(1)
	v_mul_f64 v[103:104], v[189:190], v[26:27]
	v_mul_f64 v[26:27], v[187:188], v[26:27]
	v_fma_f64 v[82:83], v[127:128], v[32:33], -v[82:83]
	v_mul_f64 v[127:128], v[173:174], v[38:39]
	v_mul_f64 v[38:39], v[171:172], v[38:39]
	v_fma_f64 v[34:35], v[129:130], v[32:33], v[34:35]
	v_mul_f64 v[129:130], v[169:170], v[22:23]
	v_mul_f64 v[22:23], v[167:168], v[22:23]
	v_fma_f64 v[80:81], v[105:106], v[0:1], -v[80:81]
	v_fma_f64 v[105:106], v[107:108], v[0:1], v[2:3]
	v_mul_f64 v[107:108], v[161:162], v[18:19]
	v_mul_f64 v[18:19], v[159:160], v[18:19]
	ds_load_b128 v[0:3], v112
	ds_load_b128 v[30:33], v112 offset:1296
	v_fma_f64 v[109:110], v[131:132], v[72:73], -v[109:110]
	s_waitcnt lgkmcnt(2)
	v_mul_f64 v[131:132], v[193:194], v[78:79]
	v_mul_f64 v[78:79], v[191:192], v[78:79]
	v_fma_f64 v[74:75], v[133:134], v[72:73], v[74:75]
	v_fma_f64 v[123:124], v[147:148], v[44:45], -v[123:124]
	v_fma_f64 v[125:126], v[149:150], v[44:45], v[125:126]
	v_fma_f64 v[115:116], v[135:136], v[56:57], -v[115:116]
	;; [unrolled: 2-line block ×7, first 2 shown]
	v_fma_f64 v[97:98], v[99:100], v[48:49], v[50:51]
	v_mul_f64 v[99:100], v[177:178], v[42:43]
	v_fma_f64 v[117:118], v[143:144], v[52:53], -v[117:118]
	v_fma_f64 v[119:120], v[145:146], v[52:53], v[119:120]
	ds_load_b128 v[46:49], v112 offset:2592
	ds_load_b128 v[54:57], v112 offset:3888
	;; [unrolled: 1-line block ×8, first 2 shown]
	s_waitcnt lgkmcnt(0)
	s_barrier
	buffer_gl0_inv
	v_fma_f64 v[127:128], v[171:172], v[36:37], -v[127:128]
	v_fma_f64 v[36:37], v[173:174], v[36:37], v[38:39]
	v_fma_f64 v[107:108], v[159:160], v[16:17], -v[107:108]
	v_fma_f64 v[139:140], v[161:162], v[16:17], v[18:19]
	v_fma_f64 v[16:17], v[167:168], v[20:21], -v[129:130]
	v_fma_f64 v[18:19], v[169:170], v[20:21], v[22:23]
	v_fma_f64 v[20:21], v[179:180], v[28:29], -v[211:212]
	v_fma_f64 v[22:23], v[181:182], v[28:29], v[213:214]
	v_add_f64 v[28:29], v[80:81], v[82:83]
	v_add_f64 v[129:130], v[2:3], v[105:106]
	;; [unrolled: 1-line block ×10, first 2 shown]
	v_add_f64 v[74:75], v[74:75], -v[133:134]
	v_add_f64 v[167:168], v[125:126], v[137:138]
	v_add_f64 v[109:110], v[109:110], -v[113:114]
	v_add_f64 v[179:180], v[62:63], v[14:15]
	;; [unrolled: 2-line block ×3, first 2 shown]
	v_add_f64 v[143:144], v[97:98], v[101:102]
	v_fma_f64 v[38:39], v[175:176], v[40:41], -v[99:100]
	v_fma_f64 v[40:41], v[177:178], v[40:41], v[209:210]
	v_fma_f64 v[99:100], v[187:188], v[24:25], -v[103:104]
	v_fma_f64 v[103:104], v[189:190], v[24:25], v[26:27]
	;; [unrolled: 2-line block ×4, first 2 shown]
	v_add_f64 v[78:79], v[105:106], v[34:35]
	v_add_f64 v[131:132], v[0:1], v[80:81]
	;; [unrolled: 1-line block ×6, first 2 shown]
	v_add_f64 v[165:166], v[58:59], -v[119:120]
	v_add_f64 v[58:59], v[123:124], v[135:136]
	v_add_f64 v[177:178], v[64:65], v[4:5]
	;; [unrolled: 1-line block ×3, first 2 shown]
	v_add_f64 v[105:106], v[105:106], -v[34:35]
	v_add_f64 v[80:81], v[80:81], -v[82:83]
	;; [unrolled: 1-line block ×4, first 2 shown]
	v_add_f64 v[191:192], v[42:43], v[6:7]
	v_add_f64 v[115:116], v[115:116], -v[117:118]
	v_add_f64 v[123:124], v[123:124], -v[135:136]
	v_add_f64 v[185:186], v[6:7], v[127:128]
	v_add_f64 v[187:188], v[8:9], v[36:37]
	v_add_f64 v[193:194], v[8:9], -v[36:37]
	v_add_f64 v[196:197], v[6:7], -v[127:128]
	v_add_f64 v[173:174], v[14:15], v[107:108]
	v_add_f64 v[175:176], v[4:5], v[139:140]
	v_fma_f64 v[237:238], v[28:29], -0.5, v[0:1]
	v_add_f64 v[181:182], v[4:5], -v[139:140]
	v_add_f64 v[207:208], v[66:67], v[16:17]
	v_add_f64 v[183:184], v[14:15], -v[107:108]
	v_add_f64 v[205:206], v[68:69], v[18:19]
	v_add_f64 v[219:220], v[10:11], v[20:21]
	;; [unrolled: 1-line block ×11, first 2 shown]
	v_fma_f64 v[78:79], v[78:79], -0.5, v[2:3]
	v_add_f64 v[2:3], v[129:130], v[34:35]
	v_add_f64 v[0:1], v[131:132], v[82:83]
	v_fma_f64 v[82:83], v[141:142], -0.5, v[30:31]
	v_fma_f64 v[129:130], v[143:144], -0.5, v[32:33]
	v_add_f64 v[6:7], v[145:146], v[101:102]
	v_add_f64 v[4:5], v[147:148], v[87:88]
	v_fma_f64 v[87:88], v[149:150], -0.5, v[46:47]
	v_fma_f64 v[101:102], v[151:152], -0.5, v[48:49]
	;; [unrolled: 1-line block ×4, first 2 shown]
	v_add_f64 v[209:210], v[18:19], -v[40:41]
	v_add_f64 v[225:226], v[72:73], v[26:27]
	v_add_f64 v[231:232], v[20:21], -v[99:100]
	v_add_f64 v[20:21], v[161:162], v[119:120]
	v_add_f64 v[18:19], v[163:164], v[117:118]
	v_fma_f64 v[117:118], v[58:59], -0.5, v[50:51]
	v_fma_f64 v[119:120], v[167:168], -0.5, v[52:53]
	v_add_f64 v[211:212], v[16:17], -v[38:39]
	v_add_f64 v[229:230], v[22:23], -v[103:104]
	v_add_f64 v[16:17], v[153:154], v[133:134]
	v_add_f64 v[22:23], v[171:172], v[135:136]
	v_add_f64 v[235:236], v[24:25], -v[60:61]
	v_add_f64 v[24:25], v[169:170], v[137:138]
	v_add_f64 v[28:29], v[177:178], v[139:140]
	v_add_f64 v[233:234], v[26:27], -v[76:77]
	v_add_f64 v[32:33], v[189:190], v[36:37]
	v_add_f64 v[26:27], v[179:180], v[107:108]
	v_add_f64 v[30:31], v[191:192], v[127:128]
	v_fma_f64 v[137:138], v[185:186], -0.5, v[42:43]
	v_fma_f64 v[139:140], v[187:188], -0.5, v[44:45]
	;; [unrolled: 1-line block ×4, first 2 shown]
	v_fma_f64 v[42:43], v[105:106], s[2:3], v[237:238]
	v_fma_f64 v[46:47], v[105:106], s[6:7], v[237:238]
	v_add_f64 v[34:35], v[207:208], v[38:39]
	v_add_f64 v[36:37], v[205:206], v[40:41]
	v_fma_f64 v[141:142], v[8:9], -0.5, v[66:67]
	v_fma_f64 v[143:144], v[200:201], -0.5, v[68:69]
	;; [unrolled: 1-line block ×6, first 2 shown]
	v_fma_f64 v[44:45], v[80:81], s[6:7], v[78:79]
	v_fma_f64 v[48:49], v[80:81], s[2:3], v[78:79]
	;; [unrolled: 1-line block ×6, first 2 shown]
	v_add_f64 v[38:39], v[227:228], v[60:61]
	v_fma_f64 v[58:59], v[74:75], s[2:3], v[87:88]
	v_fma_f64 v[60:61], v[109:110], s[6:7], v[101:102]
	;; [unrolled: 1-line block ×8, first 2 shown]
	v_add_f64 v[40:41], v[225:226], v[76:77]
	v_fma_f64 v[74:75], v[125:126], s[2:3], v[117:118]
	v_fma_f64 v[76:77], v[123:124], s[6:7], v[119:120]
	v_add_f64 v[8:9], v[219:220], v[99:100]
	v_fma_f64 v[97:98], v[125:126], s[6:7], v[117:118]
	v_fma_f64 v[99:100], v[123:124], s[2:3], v[119:120]
	v_add_f64 v[10:11], v[217:218], v[103:104]
	v_add3_u32 v78, 0, v241, v248
	v_add3_u32 v79, 0, v242, v249
	;; [unrolled: 1-line block ×3, first 2 shown]
	v_mov_b32_e32 v81, v89
	v_mov_b32_e32 v83, 0
	v_and_b32_e32 v85, 0xffff, v199
	v_mul_u32_u24_e32 v124, 0x2d83, v198
	v_mul_u32_u24_e32 v123, 0x2d83, v204
	;; [unrolled: 1-line block ×3, first 2 shown]
	v_cmp_gt_u32_e64 s0, 9, v81
	v_lshlrev_b32_e32 v82, 1, v81
	v_fma_f64 v[127:128], v[193:194], s[2:3], v[137:138]
	v_fma_f64 v[129:130], v[196:197], s[6:7], v[139:140]
	;; [unrolled: 1-line block ×20, first 2 shown]
	v_add3_u32 v12, 0, v121, v246
	v_add3_u32 v13, 0, v122, v247
	v_mov_b32_e32 v247, v89
	v_mul_u32_u24_e32 v89, 0x5a0, v93
	v_mul_u32_u24_e32 v121, 0x5a0, v95
	ds_store_b128 v245, v[0:3]
	ds_store_b128 v245, v[42:45] offset:160
	ds_store_b128 v245, v[46:49] offset:320
	ds_store_b128 v251, v[4:7]
	ds_store_b128 v251, v[50:53] offset:160
	ds_store_b128 v251, v[54:57] offset:320
	;; [unrolled: 3-line block ×10, first 2 shown]
	s_waitcnt lgkmcnt(0)
	s_barrier
	buffer_gl0_inv
	s_clause 0x3
	scratch_load_b32 v248, off, off offset:56
	scratch_load_b32 v249, off, off offset:52
	;; [unrolled: 1-line block ×4, first 2 shown]
	v_mul_lo_u16 v4, v90, 30
	v_mul_lo_u16 v6, v91, 30
	;; [unrolled: 1-line block ×3, first 2 shown]
	v_and_b32_e32 v97, 0xff, v243
	v_mul_lo_u16 v8, v94, 30
	v_mul_lo_u16 v9, v95, 30
	s_clause 0x1
	global_load_b128 v[0:3], v244, s[4:5] offset:320
	global_load_b128 v[16:19], v244, s[4:5] offset:336
	v_lshrrev_b32_e32 v98, 20, v111
	v_lshrrev_b32_e32 v99, 20, v239
	;; [unrolled: 1-line block ×3, first 2 shown]
	v_add_nc_u32_e32 v80, -9, v81
	v_sub_nc_u16 v7, v202, v7
	v_lshlrev_b32_e32 v5, 5, v97
	v_mul_lo_u16 v36, v99, 30
	v_mul_lo_u16 v52, v100, 30
	v_cndmask_b32_e64 v88, v80, v203, s0
	v_lshlrev_b64 v[80:81], 4, v[82:83]
	v_mul_u32_u24_e32 v122, 0x5a0, v98
	v_mul_u32_u24_e32 v201, 0x5a0, v99
	;; [unrolled: 1-line block ×3, first 2 shown]
	v_and_b32_e32 v103, 0xffff, v7
	s_clause 0x1
	global_load_b128 v[24:27], v5, s[4:5] offset:320
	global_load_b128 v[20:23], v5, s[4:5] offset:336
	v_add_co_u32 v254, s0, s4, v80
	s_delay_alu instid0(VALU_DEP_1) | instskip(SKIP_1) | instid1(VALU_DEP_1)
	v_add_co_ci_u32_e64 v255, s0, s5, v81, s0
	v_lshlrev_b32_e32 v111, 4, v103
	v_add3_u32 v246, 0, v89, v111
	s_waitcnt vmcnt(7)
	v_sub_nc_u16 v4, v248, v4
	s_waitcnt vmcnt(5)
	s_delay_alu instid0(VALU_DEP_1) | instskip(SKIP_2) | instid1(VALU_DEP_3)
	v_dual_mov_b32 v86, v253 :: v_dual_and_b32 v101, 0xff, v4
	v_sub_nc_u16 v4, v253, v6
	v_mul_lo_u16 v6, v98, 30
	v_lshlrev_b32_e32 v5, 5, v101
	s_delay_alu instid0(VALU_DEP_3)
	v_and_b32_e32 v102, 0xffff, v4
	s_waitcnt vmcnt(4)
	v_sub_nc_u16 v4, v87, v8
	v_sub_nc_u16 v8, v249, v9
	s_clause 0x1
	global_load_b128 v[48:51], v5, s[4:5] offset:320
	global_load_b128 v[44:47], v5, s[4:5] offset:336
	v_lshlrev_b32_e32 v7, 5, v102
	v_and_b32_e32 v104, 0xffff, v4
	v_lshlrev_b32_e32 v4, 5, v103
	v_and_b32_e32 v105, 0xffff, v8
	v_lshlrev_b32_e32 v110, 4, v102
	s_clause 0x2
	global_load_b128 v[32:35], v7, s[4:5] offset:320
	global_load_b128 v[28:31], v7, s[4:5] offset:336
	;; [unrolled: 1-line block ×3, first 2 shown]
	s_clause 0x1
	scratch_load_b32 v252, off, off offset:60
	scratch_load_b32 v251, off, off offset:12
	v_lshlrev_b32_e32 v37, 5, v104
	v_lshlrev_b32_e32 v53, 5, v105
	;; [unrolled: 1-line block ×4, first 2 shown]
	global_load_b128 v[12:15], v37, s[4:5] offset:320
	s_waitcnt vmcnt(2)
	v_sub_nc_u16 v38, v252, v6
	global_load_b128 v[4:7], v4, s[4:5] offset:336
	s_waitcnt vmcnt(2)
	v_sub_nc_u16 v54, v251, v36
	v_and_b32_e32 v106, 0xffff, v38
	s_clause 0x1
	global_load_b128 v[36:39], v37, s[4:5] offset:336
	global_load_b128 v[40:43], v53, s[4:5] offset:320
	scratch_load_b32 v250, off, off         ; 4-byte Folded Reload
	v_and_b32_e32 v107, 0xffff, v54
	v_lshlrev_b32_e32 v60, 5, v106
	v_lshlrev_b32_e32 v242, 4, v106
	s_delay_alu instid0(VALU_DEP_3)
	v_lshlrev_b32_e32 v62, 5, v107
	v_lshlrev_b32_e32 v243, 4, v107
	s_waitcnt vmcnt(0)
	v_sub_nc_u16 v61, v250, v52
	s_clause 0x3
	global_load_b128 v[52:55], v53, s[4:5] offset:336
	global_load_b128 v[56:59], v60, s[4:5] offset:320
	;; [unrolled: 1-line block ×4, first 2 shown]
	v_and_b32_e32 v108, 0xffff, v61
	s_delay_alu instid0(VALU_DEP_1)
	v_lshlrev_b32_e32 v76, 5, v108
	v_lshlrev_b32_e32 v244, 4, v108
	s_clause 0x2
	global_load_b128 v[60:63], v62, s[4:5] offset:336
	global_load_b128 v[72:75], v76, s[4:5] offset:320
	;; [unrolled: 1-line block ×3, first 2 shown]
	scratch_load_b32 v84, off, off offset:48 ; 4-byte Folded Reload
	scratch_store_b64 off, v[82:83], off offset:4 ; 8-byte Folded Spill
	v_lshlrev_b32_e32 v82, 1, v88
	ds_load_b128 v[105:108], v112 offset:27216
	v_lshlrev_b64 v[80:81], 4, v[82:83]
	v_mul_u32_u24_e32 v82, 0x5a0, v85
	v_mul_u32_u24_e32 v85, 0x5a0, v91
	;; [unrolled: 1-line block ×3, first 2 shown]
	v_and_b32_e32 v83, 0xffff, v195
	s_delay_alu instid0(VALU_DEP_3) | instskip(NEXT) | instid1(VALU_DEP_2)
	v_add3_u32 v85, 0, v85, v110
	v_mul_u32_u24_e32 v83, 0x5a0, v83
	s_waitcnt lgkmcnt(0)
	v_mul_f64 v[113:114], v[107:108], v[22:23]
	v_mul_f64 v[22:23], v[105:106], v[22:23]
	s_delay_alu instid0(VALU_DEP_2) | instskip(NEXT) | instid1(VALU_DEP_2)
	v_fma_f64 v[105:106], v[105:106], v[20:21], -v[113:114]
	v_fma_f64 v[107:108], v[107:108], v[20:21], v[22:23]
	s_waitcnt vmcnt(0)
	v_mul_lo_u16 v84, 0xb7, v84
	s_delay_alu instid0(VALU_DEP_1)
	v_lshrrev_b16 v92, 14, v84
	v_and_b32_e32 v84, 0xffff, v90
	v_lshlrev_b32_e32 v90, 4, v96
	ds_load_b128 v[93:96], v112 offset:12960
	v_mul_u32_u24_e32 v84, 0x5a0, v84
	v_add3_u32 v239, 0, v82, v90
	v_lshlrev_b32_e32 v82, 4, v97
	ds_load_b128 v[97:100], v112 offset:25920
	v_lshlrev_b32_e32 v90, 4, v101
	ds_load_b128 v[101:104], v112 offset:14256
	ds_load_b128 v[125:128], v112 offset:15552
	;; [unrolled: 1-line block ×5, first 2 shown]
	v_add3_u32 v245, 0, v83, v82
	ds_load_b128 v[141:144], v112 offset:18144
	ds_load_b128 v[145:148], v112 offset:19440
	ds_load_b128 v[149:152], v112 offset:31104
	ds_load_b128 v[153:156], v112 offset:32400
	v_add3_u32 v84, 0, v84, v90
	ds_load_b128 v[157:160], v112 offset:20736
	ds_load_b128 v[161:164], v112 offset:22032
	;; [unrolled: 1-line block ×8, first 2 shown]
	ds_load_b128 v[189:192], v112
	ds_load_b128 v[193:196], v112 offset:1296
	s_waitcnt lgkmcnt(20)
	v_mul_f64 v[82:83], v[95:96], v[2:3]
	v_mul_f64 v[2:3], v[93:94], v[2:3]
	s_waitcnt lgkmcnt(19)
	v_mul_f64 v[89:90], v[99:100], v[18:19]
	v_mul_f64 v[18:19], v[97:98], v[18:19]
	s_waitcnt lgkmcnt(18)
	v_mul_f64 v[110:111], v[103:104], v[26:27]
	s_waitcnt lgkmcnt(17)
	v_mul_f64 v[115:116], v[127:128], v[50:51]
	v_mul_f64 v[50:51], v[125:126], v[50:51]
	v_mul_f64 v[26:27], v[101:102], v[26:27]
	s_waitcnt lgkmcnt(15)
	v_mul_f64 v[117:118], v[135:136], v[46:47]
	v_mul_f64 v[46:47], v[133:134], v[46:47]
	;; [unrolled: 1-line block ×4, first 2 shown]
	s_waitcnt lgkmcnt(14)
	v_mul_f64 v[197:198], v[139:140], v[30:31]
	v_mul_f64 v[30:31], v[137:138], v[30:31]
	s_waitcnt lgkmcnt(13)
	v_mul_f64 v[199:200], v[143:144], v[10:11]
	v_mul_f64 v[10:11], v[141:142], v[10:11]
	;; [unrolled: 3-line block ×3, first 2 shown]
	v_mul_f64 v[208:209], v[147:148], v[14:15]
	s_waitcnt lgkmcnt(10)
	v_mul_f64 v[210:211], v[155:156], v[38:39]
	v_mul_f64 v[38:39], v[153:154], v[38:39]
	s_waitcnt lgkmcnt(9)
	v_mul_f64 v[212:213], v[159:160], v[42:43]
	s_waitcnt lgkmcnt(7)
	v_mul_f64 v[214:215], v[167:168], v[54:55]
	v_mul_f64 v[54:55], v[165:166], v[54:55]
	;; [unrolled: 1-line block ×4, first 2 shown]
	s_waitcnt lgkmcnt(5)
	v_mul_f64 v[218:219], v[175:176], v[66:67]
	v_mul_f64 v[66:67], v[173:174], v[66:67]
	s_waitcnt lgkmcnt(3)
	v_mul_f64 v[113:114], v[183:184], v[62:63]
	v_mul_f64 v[62:63], v[181:182], v[62:63]
	;; [unrolled: 1-line block ×3, first 2 shown]
	v_fma_f64 v[82:83], v[93:94], v[0:1], -v[82:83]
	v_fma_f64 v[93:94], v[95:96], v[0:1], v[2:3]
	v_mul_f64 v[95:96], v[145:146], v[14:15]
	v_fma_f64 v[89:90], v[97:98], v[16:17], -v[89:90]
	v_fma_f64 v[97:98], v[99:100], v[16:17], v[18:19]
	v_mul_f64 v[99:100], v[157:158], v[42:43]
	v_fma_f64 v[101:102], v[101:102], v[24:25], -v[110:111]
	v_mul_f64 v[110:111], v[171:172], v[70:71]
	v_mul_f64 v[70:71], v[169:170], v[70:71]
	v_fma_f64 v[115:116], v[125:126], v[48:49], -v[115:116]
	v_fma_f64 v[48:49], v[127:128], v[48:49], v[50:51]
	v_mul_f64 v[50:51], v[177:178], v[74:75]
	s_waitcnt lgkmcnt(2)
	v_mul_f64 v[74:75], v[187:188], v[78:79]
	v_mul_f64 v[78:79], v[185:186], v[78:79]
	v_fma_f64 v[103:104], v[103:104], v[24:25], v[26:27]
	v_fma_f64 v[117:118], v[133:134], v[44:45], -v[117:118]
	v_fma_f64 v[46:47], v[135:136], v[44:45], v[46:47]
	v_fma_f64 v[119:120], v[129:130], v[32:33], -v[119:120]
	;; [unrolled: 2-line block ×6, first 2 shown]
	v_fma_f64 v[38:39], v[155:156], v[36:37], v[38:39]
	ds_load_b128 v[0:3], v112 offset:2592
	ds_load_b128 v[14:17], v112 offset:3888
	;; [unrolled: 1-line block ×8, first 2 shown]
	s_waitcnt lgkmcnt(0)
	s_waitcnt_vscnt null, 0x0
	s_barrier
	buffer_gl0_inv
	v_fma_f64 v[12:13], v[147:148], v[12:13], v[95:96]
	v_fma_f64 v[95:96], v[153:154], v[36:37], -v[210:211]
	v_fma_f64 v[36:37], v[157:158], v[40:41], -v[212:213]
	v_fma_f64 v[40:41], v[159:160], v[40:41], v[99:100]
	v_fma_f64 v[99:100], v[165:166], v[52:53], -v[214:215]
	v_fma_f64 v[52:53], v[167:168], v[52:53], v[54:55]
	;; [unrolled: 2-line block ×8, first 2 shown]
	v_add_f64 v[76:77], v[82:83], v[89:90]
	v_add_f64 v[78:79], v[93:94], v[97:98]
	;; [unrolled: 1-line block ×7, first 2 shown]
	v_add_f64 v[151:152], v[48:49], -v[46:47]
	v_add_f64 v[48:49], v[119:120], v[125:126]
	v_add_f64 v[153:154], v[34:35], v[127:128]
	;; [unrolled: 1-line block ×9, first 2 shown]
	v_add_f64 v[93:94], v[93:94], -v[97:98]
	v_add_f64 v[82:83], v[82:83], -v[89:90]
	;; [unrolled: 1-line block ×5, first 2 shown]
	v_add_f64 v[155:156], v[16:17], v[34:35]
	v_add_f64 v[157:158], v[14:15], v[119:120]
	v_add_f64 v[159:160], v[34:35], -v[127:128]
	v_add_f64 v[119:120], v[119:120], -v[125:126]
	v_add_f64 v[165:166], v[20:21], v[10:11]
	v_add_f64 v[167:168], v[18:19], v[129:130]
	v_add_f64 v[169:170], v[10:11], -v[4:5]
	v_add_f64 v[129:130], v[129:130], -v[131:132]
	v_add_f64 v[177:178], v[22:23], v[133:134]
	v_add_f64 v[171:172], v[133:134], v[95:96]
	;; [unrolled: 1-line block ×4, first 2 shown]
	v_add_f64 v[179:180], v[12:13], -v[38:39]
	v_add_f64 v[133:134], v[133:134], -v[95:96]
	v_add_f64 v[187:188], v[26:27], v[36:37]
	v_add_f64 v[222:223], v[44:45], v[50:51]
	;; [unrolled: 1-line block ×5, first 2 shown]
	v_add_f64 v[197:198], v[40:41], -v[52:53]
	v_add_f64 v[40:41], v[54:55], v[58:59]
	v_add_f64 v[204:205], v[56:57], v[68:69]
	;; [unrolled: 1-line block ×7, first 2 shown]
	v_add_f64 v[228:229], v[54:55], -v[58:59]
	v_add_f64 v[234:235], v[50:51], -v[74:75]
	v_fma_f64 v[50:51], v[76:77], -0.5, v[189:190]
	v_fma_f64 v[54:55], v[78:79], -0.5, v[191:192]
	v_add_f64 v[206:207], v[32:33], v[56:57]
	v_add_f64 v[224:225], v[42:43], v[62:63]
	v_add_f64 v[226:227], v[56:57], -v[68:69]
	v_add_f64 v[236:237], v[62:63], -v[72:73]
	v_fma_f64 v[56:57], v[135:136], -0.5, v[193:194]
	v_fma_f64 v[62:63], v[137:138], -0.5, v[195:196]
	v_add_f64 v[214:215], v[8:9], v[64:65]
	v_add_f64 v[216:217], v[6:7], v[70:71]
	v_add_f64 v[230:231], v[64:65], -v[60:61]
	v_add_f64 v[232:233], v[70:71], -v[66:67]
	v_fma_f64 v[64:65], v[143:144], -0.5, v[0:1]
	v_fma_f64 v[70:71], v[145:146], -0.5, v[2:3]
	;; [unrolled: 1-line block ×4, first 2 shown]
	v_add_f64 v[12:13], v[110:111], v[97:98]
	v_add_f64 v[10:11], v[113:114], v[89:90]
	v_fma_f64 v[89:90], v[161:162], -0.5, v[18:19]
	v_fma_f64 v[97:98], v[163:164], -0.5, v[20:21]
	v_add_f64 v[199:200], v[36:37], -v[99:100]
	v_add_f64 v[36:37], v[139:140], v[107:108]
	v_add_f64 v[34:35], v[141:142], v[105:106]
	;; [unrolled: 1-line block ×8, first 2 shown]
	v_fma_f64 v[105:106], v[171:172], -0.5, v[22:23]
	v_fma_f64 v[107:108], v[173:174], -0.5, v[24:25]
	v_add_f64 v[24:25], v[175:176], v[38:39]
	v_add_f64 v[22:23], v[177:178], v[95:96]
	v_fma_f64 v[110:111], v[181:182], -0.5, v[26:27]
	v_fma_f64 v[113:114], v[183:184], -0.5, v[28:29]
	;; [unrolled: 1-line block ×8, first 2 shown]
	v_fma_f64 v[42:43], v[93:94], s[2:3], v[50:51]
	v_fma_f64 v[44:45], v[82:83], s[6:7], v[54:55]
	;; [unrolled: 1-line block ×4, first 2 shown]
	v_add_f64 v[28:29], v[185:186], v[52:53]
	v_fma_f64 v[50:51], v[103:104], s[2:3], v[56:57]
	v_fma_f64 v[52:53], v[101:102], s[6:7], v[62:63]
	;; [unrolled: 1-line block ×4, first 2 shown]
	v_add_f64 v[30:31], v[208:209], v[58:59]
	v_add_f64 v[6:7], v[214:215], v[60:61]
	v_fma_f64 v[58:59], v[151:152], s[2:3], v[64:65]
	v_fma_f64 v[60:61], v[115:116], s[6:7], v[70:71]
	;; [unrolled: 1-line block ×4, first 2 shown]
	v_add_f64 v[32:33], v[206:207], v[68:69]
	v_add_f64 v[4:5], v[216:217], v[66:67]
	v_fma_f64 v[66:67], v[159:160], s[2:3], v[76:77]
	v_fma_f64 v[68:69], v[119:120], s[6:7], v[78:79]
	v_add_f64 v[38:39], v[224:225], v[72:73]
	v_fma_f64 v[70:71], v[159:160], s[6:7], v[76:77]
	v_fma_f64 v[72:73], v[119:120], s[2:3], v[78:79]
	;; [unrolled: 3-line block ×3, first 2 shown]
	v_fma_f64 v[93:94], v[169:170], s[6:7], v[89:90]
	v_fma_f64 v[95:96], v[129:130], s[2:3], v[97:98]
	v_add_f64 v[26:27], v[187:188], v[99:100]
	v_add3_u32 v78, 0, v122, v242
	v_add3_u32 v79, 0, v201, v243
	;; [unrolled: 1-line block ×3, first 2 shown]
	v_mov_b32_e32 v122, v251
	v_fma_f64 v[97:98], v[179:180], s[2:3], v[105:106]
	v_fma_f64 v[99:100], v[133:134], s[6:7], v[107:108]
	;; [unrolled: 1-line block ×20, first 2 shown]
	v_add3_u32 v8, 0, v91, v240
	v_add3_u32 v9, 0, v121, v241
	v_and_b32_e32 v110, 0xffff, v92
	ds_store_b128 v239, v[10:13]
	ds_store_b128 v239, v[42:45] offset:480
	ds_store_b128 v239, v[46:49] offset:960
	ds_store_b128 v245, v[34:37]
	ds_store_b128 v245, v[50:53] offset:480
	ds_store_b128 v245, v[54:57] offset:960
	;; [unrolled: 3-line block ×10, first 2 shown]
	s_waitcnt lgkmcnt(0)
	s_barrier
	buffer_gl0_inv
	global_load_b128 v[0:3], v[254:255], off offset:1280
	scratch_load_b32 v106, off, off offset:32 ; 4-byte Folded Reload
	v_add_co_u32 v12, s0, s4, v80
	v_mul_lo_u16 v8, 0x5a, v92
	v_mov_b32_e32 v82, v248
	s_clause 0x1
	scratch_load_b32 v105, off, off offset:28
	scratch_load_b32 v103, off, off offset:24
	global_load_b128 v[4:7], v[254:255], off offset:1296
	v_lshrrev_b32_e32 v93, 20, v109
	v_lshrrev_b32_e32 v94, 20, v124
	;; [unrolled: 1-line block ×3, first 2 shown]
	v_dual_mov_b32 v139, v249 :: v_dual_mov_b32 v138, v252
	v_subrev_nc_u32_e32 v84, 27, v247
	v_mov_b32_e32 v136, v247
	v_lshlrev_b32_e32 v80, 1, v203
	v_mul_u32_u24_e32 v154, 0x10e0, v110
	v_add_co_ci_u32_e64 v13, s0, s5, v81, s0
	v_cmp_lt_u32_e64 s0, 8, v247
	v_sub_nc_u16 v16, v82, v8
	v_mul_lo_u16 v20, 0x5a, v93
	v_lshlrev_b32_e32 v82, 1, v82
	v_mul_u32_u24_e32 v115, 0x10e0, v94
	v_mul_u32_u24_e32 v116, 0x10e0, v95
	v_mul_u32_u24_e32 v113, 0x10e0, v93
	global_load_b128 v[8:11], v[12:13], off offset:1280
	scratch_load_b32 v104, off, off offset:20 ; 4-byte Folded Reload
	v_cndmask_b32_e64 v85, 0, 0x10e0, s0
	v_cmp_gt_u32_e64 s0, 27, v136
	v_and_b32_e32 v133, 0xff, v16
	global_load_b128 v[16:19], v[12:13], off offset:1296
	v_sub_nc_u16 v13, v86, v20
	v_cndmask_b32_e64 v137, v84, v86, s0
	v_lshlrev_b32_e32 v84, 4, v88
	v_add_co_u32 v120, s0, 0x1000, v254
	v_lshlrev_b32_e32 v12, 5, v133
	v_and_b32_e32 v134, 0xffff, v13
	v_add_co_ci_u32_e64 v121, s0, 0, v255, s0
	v_add3_u32 v123, 0, v85, v84
	v_lshlrev_b32_e32 v88, 1, v137
	s_clause 0x1
	global_load_b128 v[20:23], v12, s[4:5] offset:1280
	global_load_b128 v[64:67], v12, s[4:5] offset:1296
	v_lshlrev_b32_e32 v12, 5, v134
	s_clause 0x1
	global_load_b128 v[68:71], v12, s[4:5] offset:1280
	global_load_b128 v[44:47], v12, s[4:5] offset:1296
	s_waitcnt vmcnt(10)
	v_mul_u32_u24_e32 v14, 0x2d83, v106
	s_waitcnt vmcnt(9)
	v_mul_u32_u24_e32 v15, 0x2d83, v105
	;; [unrolled: 2-line block ×3, first 2 shown]
	v_mul_u32_u24_e32 v103, 0x795d, v103
	v_lshrrev_b32_e32 v96, 20, v14
	v_mul_lo_u16 v14, 0x5a, v94
	v_lshrrev_b32_e32 v97, 20, v15
	v_lshrrev_b32_e32 v98, 20, v24
	;; [unrolled: 1-line block ×3, first 2 shown]
	v_mul_u32_u24_e32 v228, 0x10e0, v96
	v_sub_nc_u16 v13, v202, v14
	v_mul_lo_u16 v14, 0x5a, v95
	v_mul_lo_u16 v24, 0x5a, v97
	;; [unrolled: 1-line block ×3, first 2 shown]
	v_mul_u32_u24_e32 v229, 0x10e0, v97
	v_mul_u32_u24_e32 v86, 0x10e0, v98
	v_mul_lo_u16 v114, 0x10e, v103
	v_and_b32_e32 v135, 0xffff, v13
	v_sub_nc_u16 v13, v87, v14
	v_mul_lo_u16 v14, 0x5a, v96
	v_mov_b32_e32 v87, v250
	v_sub_nc_u16 v42, v122, v12
	s_waitcnt vmcnt(5)
	v_mul_u32_u24_e32 v25, 0x2d83, v104
	v_mul_u32_u24_e32 v104, 0x795d, v104
	v_and_b32_e32 v130, 0xffff, v13
	v_sub_nc_u16 v13, v139, v14
	v_and_b32_e32 v131, 0xffff, v42
	v_lshrrev_b32_e32 v15, 20, v25
	v_lshlrev_b32_e32 v25, 5, v135
	v_lshrrev_b32_e32 v104, 23, v104
	v_and_b32_e32 v129, 0xffff, v13
	v_sub_nc_u16 v13, v138, v24
	v_mul_lo_u16 v40, 0x5a, v15
	v_lshlrev_b32_e32 v14, 5, v130
	v_lshlrev_b32_e32 v54, 5, v131
	global_load_b128 v[28:31], v25, s[4:5] offset:1280
	v_mul_lo_u16 v117, 0x10e, v104
	v_sub_nc_u16 v53, v87, v40
	global_load_b128 v[36:39], v14, s[4:5] offset:1280
	v_and_b32_e32 v132, 0xffff, v13
	v_lshlrev_b32_e32 v41, 5, v129
	global_load_b128 v[24:27], v25, s[4:5] offset:1296
	v_and_b32_e32 v128, 0xffff, v53
	v_lshlrev_b32_e32 v230, 4, v129
	v_lshlrev_b32_e32 v250, 4, v131
	s_clause 0x1
	global_load_b128 v[32:35], v14, s[4:5] offset:1296
	global_load_b128 v[12:15], v41, s[4:5] offset:1280
	v_lshlrev_b32_e32 v52, 5, v132
	v_lshlrev_b32_e32 v76, 5, v128
	;; [unrolled: 1-line block ×3, first 2 shown]
	v_lshl_add_u32 v251, v128, 4, 0
	s_clause 0x6
	global_load_b128 v[48:51], v41, s[4:5] offset:1296
	global_load_b128 v[40:43], v52, s[4:5] offset:1280
	;; [unrolled: 1-line block ×7, first 2 shown]
	scratch_load_b64 v[247:248], off, off offset:4 ; 8-byte Folded Reload
	scratch_store_b32 off, v86, off offset:56 ; 4-byte Folded Spill
	ds_load_b128 v[142:145], v112 offset:25920
	ds_load_b128 v[150:153], v112 offset:15552
	;; [unrolled: 1-line block ×3, first 2 shown]
	s_waitcnt vmcnt(0)
	v_dual_mov_b32 v91, v248 :: v_dual_add_nc_u32 v90, 0x6c, v247
	v_mov_b32_e32 v81, v248
	v_mov_b32_e32 v83, v248
	v_add_nc_u32_e32 v247, 0x10e, v247
	v_mov_b32_e32 v89, v248
	v_lshlrev_b64 v[99:100], 4, v[90:91]
	v_mul_u32_u24_e32 v90, 0x795d, v106
	v_lshlrev_b64 v[80:81], 4, v[80:81]
	v_mul_u32_u24_e32 v91, 0x795d, v105
	v_lshlrev_b64 v[82:83], 4, v[82:83]
	v_lshlrev_b64 v[101:102], 4, v[247:248]
	v_lshrrev_b32_e32 v84, 23, v90
	v_add_co_u32 v90, s0, 0x1040, v254
	v_lshrrev_b32_e32 v85, 23, v91
	v_add_co_ci_u32_e64 v91, s0, 0, v255, s0
	v_add_co_u32 v125, s0, s4, v80
	s_delay_alu instid0(VALU_DEP_1) | instskip(SKIP_1) | instid1(VALU_DEP_1)
	v_add_co_ci_u32_e64 v126, s0, s5, v81, s0
	v_add_co_u32 v127, s0, s4, v82
	v_add_co_ci_u32_e64 v124, s0, s5, v83, s0
	v_add_co_u32 v80, s0, s4, v99
	s_delay_alu instid0(VALU_DEP_1) | instskip(SKIP_1) | instid1(VALU_DEP_1)
	v_add_co_ci_u32_e64 v81, s0, s5, v100, s0
	v_add_co_u32 v82, s0, s4, v101
	;; [unrolled: 5-line block ×3, first 2 shown]
	v_add_co_ci_u32_e64 v107, s0, 0, v126, s0
	v_lshlrev_b64 v[108:109], 4, v[88:89]
	v_add_co_u32 v94, s0, 0x1000, v127
	s_delay_alu instid0(VALU_DEP_1) | instskip(SKIP_1) | instid1(VALU_DEP_1)
	v_add_co_ci_u32_e64 v95, s0, 0, v124, s0
	v_add_co_u32 v100, s0, 0x1040, v127
	v_add_co_ci_u32_e64 v101, s0, 0, v124, s0
	v_add_co_u32 v118, s0, s4, v108
	s_delay_alu instid0(VALU_DEP_1) | instskip(SKIP_4) | instid1(VALU_DEP_1)
	v_add_co_ci_u32_e64 v119, s0, s5, v109, s0
	v_add_co_u32 v92, s0, 0x1000, v80
	v_mul_lo_u16 v85, 0x10e, v85
	v_add_co_ci_u32_e64 v93, s0, 0, v81, s0
	v_add_co_u32 v96, s0, 0x1040, v80
	v_add_co_ci_u32_e64 v97, s0, 0, v81, s0
	s_delay_alu instid0(VALU_DEP_4)
	v_sub_nc_u16 v81, v138, v85
	v_mul_lo_u16 v111, 0x10e, v84
	v_lshlrev_b32_e32 v85, 4, v133
	scratch_store_b64 off, v[247:248], off offset:4 ; 8-byte Folded Spill
	v_add_co_u32 v98, s0, 0x1000, v82
	v_sub_nc_u16 v80, v139, v111
	ds_load_b128 v[138:141], v112 offset:12960
	v_add_co_ci_u32_e64 v99, s0, 0, v83, s0
	v_add_co_u32 v102, s0, 0x1040, v82
	v_sub_nc_u16 v82, v122, v114
	v_lshlrev_b32_e32 v114, 4, v134
	v_and_b32_e32 v86, 0xffff, v81
	scratch_store_b32 off, v84, off offset:20 ; 4-byte Folded Spill
	v_and_b32_e32 v84, 0xffff, v80
	v_add_co_ci_u32_e64 v103, s0, 0, v83, s0
	v_sub_nc_u16 v83, v87, v117
	v_lshlrev_b32_e32 v117, 4, v135
	v_add_co_u32 v108, s0, 0x1000, v118
	s_delay_alu instid0(VALU_DEP_1)
	v_add_co_ci_u32_e64 v109, s0, 0, v119, s0
	v_and_b32_e32 v82, 0xffff, v82
	v_add_co_u32 v110, s0, 0x1040, v118
	v_lshlrev_b32_e32 v118, 4, v130
	ds_load_b128 v[129:132], v112 offset:27216
	v_lshlrev_b32_e32 v253, 5, v86
	s_clause 0x1
	scratch_store_b32 off, v84, off offset:24
	scratch_store_b32 off, v82, off offset:32
	v_and_b32_e32 v87, 0xffff, v83
	scratch_store_b32 off, v86, off offset:28 ; 4-byte Folded Spill
	v_add3_u32 v86, 0, v154, v85
	ds_load_b128 v[154:157], v112 offset:28512
	v_add_co_ci_u32_e64 v111, s0, 0, v119, s0
	scratch_store_b32 off, v87, off offset:48 ; 4-byte Folded Spill
	v_lshlrev_b32_e32 v119, 5, v82
	s_waitcnt lgkmcnt(5)
	v_mul_f64 v[82:83], v[144:145], v[6:7]
	v_mul_f64 v[6:7], v[142:143], v[6:7]
	v_lshlrev_b32_e32 v122, 5, v87
	v_add3_u32 v87, 0, v113, v114
	v_add3_u32 v88, 0, v115, v117
	;; [unrolled: 1-line block ×3, first 2 shown]
	s_waitcnt lgkmcnt(4)
	v_mul_f64 v[117:118], v[152:153], v[22:23]
	v_mul_f64 v[22:23], v[150:151], v[22:23]
	v_lshlrev_b32_e32 v252, 5, v84
	v_add3_u32 v84, 0, v228, v230
	v_add3_u32 v85, 0, v229, v231
	ds_load_b128 v[158:161], v112 offset:16848
	ds_load_b128 v[162:165], v112 offset:29808
	;; [unrolled: 1-line block ×14, first 2 shown]
	s_waitcnt lgkmcnt(16)
	v_mul_f64 v[80:81], v[140:141], v[2:3]
	v_mul_f64 v[2:3], v[138:139], v[2:3]
	;; [unrolled: 1-line block ×4, first 2 shown]
	s_waitcnt lgkmcnt(15)
	v_mul_f64 v[115:116], v[131:132], v[18:19]
	v_mul_f64 v[18:19], v[129:130], v[18:19]
	s_waitcnt lgkmcnt(14)
	v_mul_f64 v[133:134], v[156:157], v[66:67]
	v_mul_f64 v[66:67], v[154:155], v[66:67]
	s_waitcnt lgkmcnt(7)
	v_mul_f64 v[218:219], v[184:185], v[14:15]
	s_waitcnt lgkmcnt(3)
	v_mul_f64 v[226:227], v[200:201], v[58:59]
	v_mul_f64 v[58:59], v[198:199], v[58:59]
	;; [unrolled: 1-line block ×8, first 2 shown]
	v_fma_f64 v[82:83], v[142:143], v[4:5], -v[82:83]
	v_mul_f64 v[142:143], v[176:177], v[26:27]
	v_mul_f64 v[26:27], v[174:175], v[26:27]
	v_fma_f64 v[117:118], v[150:151], v[20:21], -v[117:118]
	v_fma_f64 v[150:151], v[152:153], v[20:21], v[22:23]
	v_mul_f64 v[152:153], v[196:197], v[62:63]
	v_mul_f64 v[62:63], v[194:195], v[62:63]
	v_fma_f64 v[80:81], v[138:139], v[0:1], -v[80:81]
	v_fma_f64 v[138:139], v[140:141], v[0:1], v[2:3]
	v_mul_f64 v[0:1], v[164:165], v[46:47]
	v_mul_f64 v[2:3], v[162:163], v[46:47]
	v_mul_f64 v[46:47], v[168:169], v[30:31]
	v_fma_f64 v[140:141], v[144:145], v[4:5], v[6:7]
	v_mul_f64 v[144:145], v[172:173], v[38:39]
	v_mul_f64 v[38:39], v[170:171], v[38:39]
	v_fma_f64 v[113:114], v[146:147], v[8:9], -v[113:114]
	v_fma_f64 v[146:147], v[148:149], v[8:9], v[10:11]
	v_mul_f64 v[148:149], v[180:181], v[34:35]
	v_mul_f64 v[30:31], v[166:167], v[30:31]
	v_fma_f64 v[115:116], v[129:130], v[16:17], -v[115:116]
	v_fma_f64 v[128:129], v[131:132], v[16:17], v[18:19]
	v_mul_f64 v[130:131], v[192:193], v[50:51]
	v_mul_f64 v[50:51], v[190:191], v[50:51]
	v_fma_f64 v[132:133], v[154:155], v[64:65], -v[133:134]
	v_fma_f64 v[64:65], v[156:157], v[64:65], v[66:67]
	s_waitcnt lgkmcnt(1)
	v_mul_f64 v[66:67], v[208:209], v[54:55]
	v_mul_f64 v[54:55], v[206:207], v[54:55]
	;; [unrolled: 1-line block ×4, first 2 shown]
	v_fma_f64 v[154:155], v[158:159], v[68:69], -v[214:215]
	v_fma_f64 v[68:69], v[160:161], v[68:69], v[70:71]
	s_waitcnt lgkmcnt(0)
	v_mul_f64 v[70:71], v[212:213], v[78:79]
	v_mul_f64 v[78:79], v[210:211], v[78:79]
	v_fma_f64 v[142:143], v[174:175], v[24:25], -v[142:143]
	v_fma_f64 v[152:153], v[194:195], v[60:61], -v[152:153]
	v_fma_f64 v[60:61], v[196:197], v[60:61], v[62:63]
	v_fma_f64 v[62:63], v[198:199], v[56:57], -v[226:227]
	v_fma_f64 v[56:57], v[200:201], v[56:57], v[58:59]
	;; [unrolled: 2-line block ×5, first 2 shown]
	ds_load_b128 v[0:3], v112
	ds_load_b128 v[4:7], v112 offset:1296
	ds_load_b128 v[8:11], v112 offset:2592
	ds_load_b128 v[14:17], v112 offset:3888
	v_fma_f64 v[148:149], v[178:179], v[32:33], -v[148:149]
	v_fma_f64 v[162:163], v[176:177], v[24:25], v[26:27]
	ds_load_b128 v[18:21], v112 offset:5184
	ds_load_b128 v[22:25], v112 offset:6480
	v_fma_f64 v[160:161], v[168:169], v[28:29], v[30:31]
	v_fma_f64 v[166:167], v[182:183], v[12:13], -v[218:219]
	v_fma_f64 v[12:13], v[184:185], v[12:13], v[220:221]
	ds_load_b128 v[26:29], v112 offset:7776
	ds_load_b128 v[34:37], v112 offset:9072
	;; [unrolled: 1-line block ×4, first 2 shown]
	v_fma_f64 v[130:131], v[190:191], v[48:49], -v[130:131]
	v_fma_f64 v[48:49], v[192:193], v[48:49], v[50:51]
	v_fma_f64 v[50:51], v[186:187], v[40:41], -v[222:223]
	v_fma_f64 v[40:41], v[188:189], v[40:41], v[224:225]
	v_add_f64 v[168:169], v[113:114], v[115:116]
	v_add_f64 v[170:171], v[146:147], v[128:129]
	v_fma_f64 v[58:59], v[206:207], v[52:53], -v[66:67]
	v_fma_f64 v[52:53], v[208:209], v[52:53], v[54:55]
	v_fma_f64 v[54:55], v[202:203], v[72:73], -v[134:135]
	v_fma_f64 v[66:67], v[204:205], v[72:73], v[74:75]
	v_add_f64 v[74:75], v[80:81], v[82:83]
	v_add_f64 v[176:177], v[117:118], v[132:133]
	;; [unrolled: 1-line block ×3, first 2 shown]
	v_fma_f64 v[70:71], v[210:211], v[76:77], -v[70:71]
	v_fma_f64 v[72:73], v[212:213], v[76:77], v[78:79]
	v_add_f64 v[76:77], v[138:139], v[140:141]
	s_waitcnt lgkmcnt(9)
	v_add_f64 v[78:79], v[2:3], v[138:139]
	v_add_f64 v[134:135], v[0:1], v[80:81]
	s_waitcnt lgkmcnt(7)
	v_add_f64 v[182:183], v[8:9], v[117:118]
	v_add_f64 v[138:139], v[138:139], -v[140:141]
	v_add_f64 v[80:81], v[80:81], -v[82:83]
	v_add_f64 v[180:181], v[10:11], v[150:151]
	v_add_f64 v[117:118], v[117:118], -v[132:133]
	v_add_f64 v[150:151], v[150:151], -v[64:65]
	v_add_f64 v[172:173], v[6:7], v[146:147]
	v_add_f64 v[174:175], v[4:5], v[113:114]
	s_waitcnt lgkmcnt(6)
	v_add_f64 v[194:195], v[14:15], v[154:155]
	v_add_f64 v[146:147], v[146:147], -v[128:129]
	v_add_f64 v[113:114], v[113:114], -v[115:116]
	v_add_f64 v[192:193], v[16:17], v[68:69]
	s_waitcnt lgkmcnt(1)
	v_add_f64 v[228:229], v[32:33], v[56:57]
	v_add_f64 v[230:231], v[30:31], v[62:63]
	;; [unrolled: 1-line block ×10, first 2 shown]
	v_add_f64 v[68:69], v[68:69], -v[158:159]
	v_add_f64 v[196:197], v[20:21], v[160:161]
	v_add_f64 v[206:207], v[22:23], v[144:145]
	;; [unrolled: 1-line block ×3, first 2 shown]
	v_add_f64 v[154:155], v[154:155], -v[156:157]
	v_add_f64 v[160:161], v[160:161], -v[162:163]
	;; [unrolled: 1-line block ×4, first 2 shown]
	v_add_f64 v[214:215], v[26:27], v[166:167]
	v_add_f64 v[218:219], v[40:41], v[60:61]
	;; [unrolled: 1-line block ×6, first 2 shown]
	v_add_f64 v[236:237], v[12:13], -v[48:49]
	v_add_f64 v[240:241], v[50:51], -v[152:153]
	;; [unrolled: 1-line block ×3, first 2 shown]
	v_add_f64 v[208:209], v[166:167], v[130:131]
	v_add_f64 v[166:167], v[166:167], -v[130:131]
	v_add_f64 v[226:227], v[56:57], v[52:53]
	v_add_f64 v[224:225], v[62:63], v[58:59]
	v_fma_f64 v[74:75], v[74:75], -0.5, v[0:1]
	v_add_f64 v[244:245], v[62:63], -v[58:59]
	v_fma_f64 v[62:63], v[176:177], -0.5, v[8:9]
	v_add_f64 v[242:243], v[56:57], -v[52:53]
	v_fma_f64 v[76:77], v[76:77], -0.5, v[2:3]
	v_add_f64 v[232:233], v[54:55], v[70:71]
	v_add_f64 v[246:247], v[66:67], -v[72:73]
	v_add_f64 v[248:249], v[54:55], -v[70:71]
	v_add_f64 v[2:3], v[78:79], v[140:141]
	v_add_f64 v[0:1], v[134:135], v[82:83]
	;; [unrolled: 1-line block ×3, first 2 shown]
	s_waitcnt lgkmcnt(0)
	v_add_f64 v[82:83], v[44:45], v[66:67]
	v_fma_f64 v[134:135], v[168:169], -0.5, v[4:5]
	v_fma_f64 v[140:141], v[170:171], -0.5, v[6:7]
	v_add_f64 v[168:169], v[42:43], v[54:55]
	v_add_f64 v[170:171], v[46:47], -v[142:143]
	v_fma_f64 v[66:67], v[178:179], -0.5, v[10:11]
	v_add_f64 v[8:9], v[182:183], v[132:133]
	v_add_f64 v[10:11], v[180:181], v[64:65]
	v_add_f64 v[6:7], v[172:173], v[128:129]
	v_add_f64 v[4:5], v[174:175], v[115:116]
	v_add_f64 v[12:13], v[194:195], v[156:157]
	v_fma_f64 v[115:116], v[184:185], -0.5, v[14:15]
	v_fma_f64 v[128:129], v[186:187], -0.5, v[16:17]
	v_fma_f64 v[132:133], v[188:189], -0.5, v[18:19]
	v_add_f64 v[16:17], v[198:199], v[142:143]
	v_fma_f64 v[142:143], v[200:201], -0.5, v[22:23]
	v_fma_f64 v[156:157], v[202:203], -0.5, v[24:25]
	v_add_f64 v[22:23], v[204:205], v[164:165]
	v_add_f64 v[18:19], v[196:197], v[162:163]
	v_fma_f64 v[172:173], v[190:191], -0.5, v[20:21]
	v_add_f64 v[14:15], v[192:193], v[158:159]
	v_add_f64 v[20:21], v[206:207], v[148:149]
	;; [unrolled: 1-line block ×3, first 2 shown]
	v_fma_f64 v[164:165], v[218:219], -0.5, v[36:37]
	v_fma_f64 v[162:163], v[216:217], -0.5, v[34:35]
	v_add_f64 v[36:37], v[220:221], v[60:61]
	v_add_f64 v[34:35], v[222:223], v[152:153]
	v_fma_f64 v[148:149], v[208:209], -0.5, v[26:27]
	v_fma_f64 v[158:159], v[210:211], -0.5, v[28:29]
	v_add_f64 v[26:27], v[212:213], v[48:49]
	v_add_f64 v[28:29], v[230:231], v[58:59]
	v_fma_f64 v[32:33], v[226:227], -0.5, v[32:33]
	v_fma_f64 v[174:175], v[224:225], -0.5, v[30:31]
	v_add_f64 v[30:31], v[228:229], v[52:53]
	v_fma_f64 v[46:47], v[138:139], s[6:7], v[74:75]
	v_fma_f64 v[58:59], v[150:151], s[2:3], v[62:63]
	;; [unrolled: 1-line block ×3, first 2 shown]
	v_fma_f64 v[176:177], v[232:233], -0.5, v[42:43]
	v_fma_f64 v[42:43], v[138:139], s[2:3], v[74:75]
	v_fma_f64 v[48:49], v[80:81], s[2:3], v[76:77]
	v_add_f64 v[40:41], v[82:83], v[72:73]
	v_add_f64 v[38:39], v[168:169], v[70:71]
	v_fma_f64 v[50:51], v[146:147], s[2:3], v[134:135]
	v_fma_f64 v[54:55], v[146:147], s[6:7], v[134:135]
	;; [unrolled: 1-line block ×6, first 2 shown]
	v_fma_f64 v[78:79], v[78:79], -0.5, v[44:45]
	v_fma_f64 v[44:45], v[80:81], s[6:7], v[76:77]
	v_fma_f64 v[66:67], v[68:69], s[2:3], v[115:116]
	;; [unrolled: 1-line block ×23, first 2 shown]
	scratch_load_b32 v32, off, off offset:56 ; 4-byte Folded Reload
	v_fma_f64 v[158:159], v[242:243], s[2:3], v[174:175]
	v_fma_f64 v[162:163], v[242:243], s[6:7], v[174:175]
	v_add_co_u32 v33, s0, s4, v252
	s_waitcnt vmcnt(0)
	s_waitcnt_vscnt null, 0x0
	s_barrier
	buffer_gl0_inv
	v_fma_f64 v[166:167], v[246:247], s[2:3], v[176:177]
	v_fma_f64 v[170:171], v[246:247], s[6:7], v[176:177]
	;; [unrolled: 1-line block ×4, first 2 shown]
	v_add_co_ci_u32_e64 v78, null, s5, 0, s0
	v_add3_u32 v32, 0, v32, v250
	ds_store_b128 v112, v[0:3]
	ds_store_b128 v112, v[42:45] offset:1440
	ds_store_b128 v112, v[46:49] offset:2880
	ds_store_b128 v123, v[4:7]
	ds_store_b128 v123, v[50:53] offset:1440
	ds_store_b128 v123, v[54:57] offset:2880
	;; [unrolled: 3-line block ×9, first 2 shown]
	ds_store_b128 v251, v[38:41] offset:34560
	ds_store_b128 v251, v[166:169] offset:36000
	;; [unrolled: 1-line block ×3, first 2 shown]
	v_add_co_u32 v12, s0, s4, v253
	s_waitcnt lgkmcnt(0)
	s_barrier
	buffer_gl0_inv
	s_clause 0x3
	global_load_b128 v[48:51], v[120:121], off offset:64
	global_load_b128 v[0:3], v[106:107], off offset:16
	;; [unrolled: 1-line block ×4, first 2 shown]
	v_lshlrev_b32_e32 v89, 4, v137
	v_add_co_ci_u32_e64 v13, null, s5, 0, s0
	v_add_co_u32 v40, s0, s4, v119
	s_delay_alu instid0(VALU_DEP_1) | instskip(SKIP_1) | instid1(VALU_DEP_1)
	v_add_co_ci_u32_e64 v41, null, s5, 0, s0
	v_add_co_u32 v62, s0, s4, v122
	v_add_co_ci_u32_e64 v63, null, s5, 0, s0
	v_add_co_u32 v24, s0, 0x1000, v33
	s_delay_alu instid0(VALU_DEP_1) | instskip(SKIP_1) | instid1(VALU_DEP_1)
	v_add_co_ci_u32_e64 v25, s0, 0, v78, s0
	v_add_co_u32 v26, s0, 0x1040, v33
	v_add_co_ci_u32_e64 v27, s0, 0, v78, s0
	s_clause 0x5
	global_load_b128 v[76:79], v[94:95], off offset:64
	global_load_b128 v[64:67], v[100:101], off offset:16
	;; [unrolled: 1-line block ×6, first 2 shown]
	v_add_co_u32 v28, s0, 0x1000, v12
	s_delay_alu instid0(VALU_DEP_1) | instskip(SKIP_1) | instid1(VALU_DEP_1)
	v_add_co_ci_u32_e64 v29, s0, 0, v13, s0
	v_add_co_u32 v30, s0, 0x1040, v12
	v_add_co_ci_u32_e64 v31, s0, 0, v13, s0
	s_clause 0x3
	global_load_b128 v[16:19], v[98:99], off offset:64
	global_load_b128 v[12:15], v[102:103], off offset:16
	;; [unrolled: 1-line block ×4, first 2 shown]
	v_add_co_u32 v44, s0, 0x1000, v40
	s_delay_alu instid0(VALU_DEP_1) | instskip(SKIP_1) | instid1(VALU_DEP_1)
	v_add_co_ci_u32_e64 v45, s0, 0, v41, s0
	v_add_co_u32 v46, s0, 0x1040, v40
	v_add_co_ci_u32_e64 v47, s0, 0, v41, s0
	s_clause 0x1
	global_load_b128 v[40:43], v[28:29], off offset:64
	global_load_b128 v[28:31], v[30:31], off offset:16
	v_add_co_u32 v60, s0, 0x1000, v62
	s_delay_alu instid0(VALU_DEP_1)
	v_add_co_ci_u32_e64 v61, s0, 0, v63, s0
	v_add_co_u32 v72, s0, 0x1040, v62
	s_clause 0x1
	global_load_b128 v[52:55], v[44:45], off offset:64
	global_load_b128 v[44:47], v[46:47], off offset:16
	v_add_co_ci_u32_e64 v73, s0, 0, v63, s0
	v_cmp_lt_u32_e64 s0, 26, v136
	s_clause 0x1
	global_load_b128 v[60:63], v[60:61], off offset:64
	global_load_b128 v[72:75], v[72:73], off offset:16
	s_clause 0x3
	scratch_load_b64 v[220:221], off, off offset:4
	scratch_load_b32 v80, off, off offset:44
	scratch_load_b32 v82, off, off offset:40
	;; [unrolled: 1-line block ×3, first 2 shown]
	ds_load_b128 v[118:121], v112 offset:12960
	v_cndmask_b32_e64 v88, 0, 0x32a0, s0
	v_add_co_u32 v113, s0, 0x3000, v254
	s_delay_alu instid0(VALU_DEP_1) | instskip(SKIP_1) | instid1(VALU_DEP_1)
	v_add_co_ci_u32_e64 v114, s0, 0, v255, s0
	v_add_co_u32 v115, s0, 0x3200, v254
	v_add_co_ci_u32_e64 v116, s0, 0, v255, s0
	v_add_co_u32 v94, s0, 0x3000, v125
	s_delay_alu instid0(VALU_DEP_1) | instskip(SKIP_1) | instid1(VALU_DEP_1)
	v_add_co_ci_u32_e64 v95, s0, 0, v126, s0
	v_add_co_u32 v96, s0, 0x3200, v125
	v_add_co_ci_u32_e64 v97, s0, 0, v126, s0
	v_add_co_u32 v90, s0, 0x3000, v127
	s_delay_alu instid0(VALU_DEP_1)
	v_add_co_ci_u32_e64 v91, s0, 0, v124, s0
	v_add_co_u32 v92, s0, 0x3200, v127
	ds_load_b128 v[126:129], v112 offset:14256
	v_add_co_ci_u32_e64 v93, s0, 0, v124, s0
	ds_load_b128 v[122:125], v112 offset:25920
	scratch_load_b32 v85, off, off offset:36 ; 4-byte Folded Reload
	s_waitcnt vmcnt(21) lgkmcnt(1)
	v_mul_f64 v[210:211], v[128:129], v[6:7]
	v_mul_f64 v[6:7], v[126:127], v[6:7]
	s_delay_alu instid0(VALU_DEP_2) | instskip(NEXT) | instid1(VALU_DEP_2)
	v_fma_f64 v[126:127], v[126:127], v[4:5], -v[210:211]
	v_fma_f64 v[128:129], v[128:129], v[4:5], v[6:7]
	s_waitcnt vmcnt(3)
	v_lshlrev_b32_e32 v220, 1, v80
	v_add3_u32 v80, 0, v88, v89
	scratch_store_b32 off, v80, off offset:4 ; 4-byte Folded Spill
	v_lshlrev_b64 v[80:81], 4, v[220:221]
	s_waitcnt vmcnt(2)
	v_lshlrev_b32_e32 v220, 1, v82
	scratch_load_b32 v82, off, off offset:20 ; 4-byte Folded Reload
	s_waitcnt vmcnt(0)
	v_mul_u32_u24_e32 v84, 0x32a0, v82
	v_lshlrev_b64 v[82:83], 4, v[220:221]
	v_lshlrev_b32_e32 v220, 1, v85
	v_add_co_u32 v85, s0, s4, v80
	s_delay_alu instid0(VALU_DEP_1) | instskip(NEXT) | instid1(VALU_DEP_3)
	v_add_co_ci_u32_e64 v101, s0, s5, v81, s0
	v_lshlrev_b64 v[80:81], 4, v[220:221]
	s_delay_alu instid0(VALU_DEP_3) | instskip(NEXT) | instid1(VALU_DEP_1)
	v_add_co_u32 v98, s0, 0x3000, v85
	v_add_co_ci_u32_e64 v99, s0, 0, v101, s0
	v_add_co_u32 v100, s0, 0x3200, v85
	s_delay_alu instid0(VALU_DEP_1) | instskip(SKIP_1) | instid1(VALU_DEP_1)
	v_add_co_ci_u32_e64 v101, s0, 0, v101, s0
	v_add_co_u32 v85, s0, s4, v82
	v_add_co_ci_u32_e64 v105, s0, s5, v83, s0
	s_delay_alu instid0(VALU_DEP_2) | instskip(NEXT) | instid1(VALU_DEP_1)
	v_add_co_u32 v102, s0, 0x3000, v85
	v_add_co_ci_u32_e64 v103, s0, 0, v105, s0
	v_add_co_u32 v104, s0, 0x3200, v85
	s_delay_alu instid0(VALU_DEP_1)
	v_add_co_ci_u32_e64 v105, s0, 0, v105, s0
	v_add_co_u32 v85, s0, s4, v80
	scratch_load_b32 v80, off, off offset:24 ; 4-byte Folded Reload
	v_lshlrev_b32_e32 v220, 1, v86
	scratch_load_b32 v86, off, off offset:60 ; 4-byte Folded Reload
	v_add_co_ci_u32_e64 v109, s0, s5, v81, s0
	v_add_co_u32 v106, s0, 0x3000, v85
	v_lshlrev_b64 v[82:83], 4, v[220:221]
	s_delay_alu instid0(VALU_DEP_3) | instskip(SKIP_1) | instid1(VALU_DEP_1)
	v_add_co_ci_u32_e64 v107, s0, 0, v109, s0
	v_add_co_u32 v108, s0, 0x3200, v85
	v_add_co_ci_u32_e64 v109, s0, 0, v109, s0
	s_delay_alu instid0(VALU_DEP_4) | instskip(NEXT) | instid1(VALU_DEP_1)
	v_add_co_u32 v85, s0, s4, v82
	v_add_co_ci_u32_e64 v130, s0, s5, v83, s0
	s_waitcnt vmcnt(0)
	v_lshlrev_b32_e32 v220, 1, v86
	scratch_load_b32 v86, off, off offset:12 ; 4-byte Folded Reload
	v_lshlrev_b32_e32 v110, 4, v80
	scratch_load_b32 v80, off, off offset:28 ; 4-byte Folded Reload
	v_add3_u32 v111, 0, v84, v110
	s_waitcnt vmcnt(0)
	v_lshl_add_u32 v89, v80, 4, 0
	scratch_load_b32 v80, off, off offset:32 ; 4-byte Folded Reload
	s_waitcnt vmcnt(0)
	v_lshl_add_u32 v80, v80, 4, 0
	scratch_store_b32 off, v80, off offset:20 ; 4-byte Folded Spill
	scratch_load_b32 v80, off, off offset:48 ; 4-byte Folded Reload
	s_waitcnt vmcnt(0)
	v_lshl_add_u32 v117, v80, 4, 0
	v_lshlrev_b64 v[80:81], 4, v[220:221]
	v_lshlrev_b32_e32 v220, 1, v86
	v_add_co_u32 v86, s0, 0x3000, v85
	s_delay_alu instid0(VALU_DEP_1) | instskip(SKIP_1) | instid1(VALU_DEP_4)
	v_add_co_ci_u32_e64 v87, s0, 0, v130, s0
	v_add_co_u32 v206, s0, 0x3200, v85
	v_lshlrev_b64 v[82:83], 4, v[220:221]
	v_add_co_ci_u32_e64 v207, s0, 0, v130, s0
	ds_load_b128 v[130:133], v112 offset:27216
	s_waitcnt lgkmcnt(1)
	v_mul_f64 v[208:209], v[124:125], v[22:23]
	v_mul_f64 v[22:23], v[122:123], v[22:23]
	v_add_co_u32 v88, s0, s4, v80
	s_delay_alu instid0(VALU_DEP_1)
	v_add_co_ci_u32_e64 v110, s0, s5, v81, s0
	v_mul_f64 v[80:81], v[120:121], v[50:51]
	v_mul_f64 v[50:51], v[118:119], v[50:51]
	scratch_store_b64 off, v[82:83], off offset:12 ; 8-byte Folded Spill
	scratch_load_b32 v82, off, off          ; 4-byte Folded Reload
	ds_load_b128 v[134:137], v112 offset:15552
	ds_load_b128 v[138:141], v112 offset:16848
	;; [unrolled: 1-line block ×16, first 2 shown]
	ds_load_b128 v[198:201], v112
	ds_load_b128 v[202:205], v112 offset:1296
	s_waitcnt lgkmcnt(18)
	v_mul_f64 v[212:213], v[132:133], v[2:3]
	v_mul_f64 v[2:3], v[130:131], v[2:3]
	s_waitcnt lgkmcnt(17)
	v_mul_f64 v[214:215], v[136:137], v[78:79]
	v_mul_f64 v[78:79], v[134:135], v[78:79]
	;; [unrolled: 3-line block ×5, first 2 shown]
	v_mul_f64 v[70:71], v[138:139], v[70:71]
	v_mul_f64 v[226:227], v[156:157], v[18:19]
	s_waitcnt lgkmcnt(4)
	v_mul_f64 v[238:239], v[188:189], v[62:63]
	v_mul_f64 v[216:217], v[144:145], v[66:67]
	;; [unrolled: 1-line block ×5, first 2 shown]
	s_waitcnt lgkmcnt(3)
	v_mul_f64 v[234:235], v[192:193], v[46:47]
	v_mul_f64 v[236:237], v[190:191], v[46:47]
	;; [unrolled: 1-line block ×6, first 2 shown]
	v_fma_f64 v[122:123], v[122:123], v[20:21], -v[208:209]
	v_fma_f64 v[22:23], v[124:125], v[20:21], v[22:23]
	v_mul_f64 v[124:125], v[176:177], v[26:27]
	v_mul_f64 v[26:27], v[174:175], v[26:27]
	v_mul_f64 v[208:209], v[172:173], v[42:43]
	v_mul_f64 v[42:43], v[170:171], v[42:43]
	v_fma_f64 v[80:81], v[118:119], v[48:49], -v[80:81]
	v_fma_f64 v[50:51], v[120:121], v[48:49], v[50:51]
	v_mul_f64 v[118:119], v[154:155], v[18:19]
	v_mul_f64 v[120:121], v[164:165], v[14:15]
	;; [unrolled: 1-line block ×3, first 2 shown]
	v_fma_f64 v[130:131], v[130:131], v[0:1], -v[212:213]
	v_fma_f64 v[132:133], v[132:133], v[0:1], v[2:3]
	v_mul_f64 v[212:213], v[182:183], v[54:55]
	ds_load_b128 v[0:3], v112 offset:2592
	ds_load_b128 v[4:7], v112 offset:3888
	;; [unrolled: 1-line block ×4, first 2 shown]
	v_fma_f64 v[134:135], v[134:135], v[76:77], -v[214:215]
	v_fma_f64 v[76:77], v[136:137], v[76:77], v[78:79]
	v_mul_f64 v[78:79], v[186:187], v[62:63]
	s_waitcnt lgkmcnt(6)
	v_mul_f64 v[136:137], v[196:197], v[74:75]
	v_mul_f64 v[74:75], v[194:195], v[74:75]
	v_fma_f64 v[34:35], v[152:153], v[32:33], v[34:35]
	v_fma_f64 v[138:139], v[138:139], v[68:69], -v[218:219]
	v_fma_f64 v[70:71], v[140:141], v[68:69], v[70:71]
	v_fma_f64 v[142:143], v[142:143], v[64:65], -v[216:217]
	;; [unrolled: 2-line block ×4, first 2 shown]
	v_fma_f64 v[148:149], v[158:159], v[8:9], -v[224:225]
	v_fma_f64 v[150:151], v[160:161], v[8:9], v[10:11]
	v_fma_f64 v[8:9], v[154:155], v[16:17], -v[226:227]
	s_waitcnt lgkmcnt(4)
	v_add_f64 v[160:161], v[204:205], v[128:129]
	ds_load_b128 v[54:57], v112 offset:7776
	ds_load_b128 v[62:65], v112 offset:9072
	;; [unrolled: 1-line block ×4, first 2 shown]
	s_waitcnt vmcnt(0) lgkmcnt(0)
	s_waitcnt_vscnt null, 0x0
	s_barrier
	buffer_gl0_inv
	v_fma_f64 v[10:11], v[156:157], v[16:17], v[118:119]
	v_fma_f64 v[118:119], v[162:163], v[12:13], -v[120:121]
	v_fma_f64 v[120:121], v[164:165], v[12:13], v[14:15]
	v_fma_f64 v[12:13], v[166:167], v[36:37], -v[228:229]
	;; [unrolled: 2-line block ×3, first 2 shown]
	v_fma_f64 v[124:125], v[186:187], v[60:61], -v[238:239]
	v_fma_f64 v[24:25], v[176:177], v[24:25], v[26:27]
	v_add_f64 v[154:155], v[198:199], v[80:81]
	v_fma_f64 v[16:17], v[170:171], v[40:41], -v[208:209]
	v_fma_f64 v[26:27], v[172:173], v[40:41], v[42:43]
	v_fma_f64 v[40:41], v[182:183], v[52:53], -v[232:233]
	v_add_f64 v[162:163], v[202:203], v[126:127]
	v_fma_f64 v[38:39], v[178:179], v[28:29], -v[210:211]
	v_fma_f64 v[28:29], v[180:181], v[28:29], v[230:231]
	v_add_f64 v[152:153], v[200:201], v[50:51]
	v_add_f64 v[156:157], v[126:127], v[130:131]
	v_add_f64 v[158:159], v[128:129], v[132:133]
	v_fma_f64 v[42:43], v[184:185], v[52:53], v[212:213]
	v_fma_f64 v[52:53], v[190:191], v[44:45], -v[234:235]
	v_add_f64 v[128:129], v[128:129], -v[132:133]
	v_add_f64 v[126:127], v[126:127], -v[130:131]
	v_fma_f64 v[44:45], v[192:193], v[44:45], v[236:237]
	v_fma_f64 v[60:61], v[188:189], v[60:61], v[78:79]
	v_fma_f64 v[78:79], v[194:195], v[72:73], -v[136:137]
	v_fma_f64 v[72:73], v[196:197], v[72:73], v[74:75]
	v_add_f64 v[74:75], v[80:81], v[122:123]
	v_add_f64 v[136:137], v[50:51], v[22:23]
	v_add_f64 v[50:51], v[50:51], -v[22:23]
	v_add_f64 v[184:185], v[20:21], v[34:35]
	v_add_f64 v[168:169], v[2:3], v[76:77]
	v_add_f64 v[170:171], v[0:1], v[134:135]
	v_add_f64 v[178:179], v[4:5], v[138:139]
	v_add_f64 v[176:177], v[6:7], v[70:71]
	v_add_f64 v[164:165], v[134:135], v[142:143]
	v_add_f64 v[166:167], v[76:77], v[144:145]
	v_add_f64 v[76:77], v[76:77], -v[144:145]
	v_add_f64 v[134:135], v[134:135], -v[142:143]
	v_add_f64 v[172:173], v[138:139], v[140:141]
	v_add_f64 v[180:181], v[146:147], v[148:149]
	v_add_f64 v[182:183], v[34:35], v[150:151]
	v_add_f64 v[186:187], v[18:19], v[146:147]
	v_add_f64 v[188:189], v[34:35], -v[150:151]
	v_add_f64 v[194:195], v[46:47], v[8:9]
	v_add_f64 v[174:175], v[70:71], v[58:59]
	v_add_f64 v[138:139], v[138:139], -v[140:141]
	v_add_f64 v[146:147], v[146:147], -v[148:149]
	;; [unrolled: 1-line block ×3, first 2 shown]
	v_add_f64 v[34:35], v[8:9], v[118:119]
	v_add_f64 v[190:191], v[10:11], v[120:121]
	v_add_f64 v[208:209], v[8:9], -v[118:119]
	v_add_f64 v[210:211], v[12:13], v[36:37]
	v_add_f64 v[212:213], v[14:15], v[24:25]
	;; [unrolled: 1-line block ×8, first 2 shown]
	v_add_f64 v[218:219], v[14:15], -v[24:25]
	v_add_f64 v[14:15], v[160:161], v[132:133]
	v_add_f64 v[222:223], v[16:17], v[38:39]
	v_add_f64 v[224:225], v[26:27], v[28:29]
	v_add_f64 v[192:193], v[48:49], v[10:11]
	v_add_f64 v[196:197], v[10:11], -v[120:121]
	v_add_f64 v[10:11], v[152:153], v[22:23]
	v_add_f64 v[228:229], v[62:63], v[16:17]
	v_add_f64 v[232:233], v[16:17], -v[38:39]
	v_add_f64 v[230:231], v[26:27], -v[28:29]
	v_add_f64 v[234:235], v[40:41], v[52:53]
	v_add_f64 v[238:239], v[32:33], v[42:43]
	;; [unrolled: 1-line block ×3, first 2 shown]
	v_add_f64 v[250:251], v[42:43], -v[44:45]
	v_add_f64 v[252:253], v[40:41], -v[52:53]
	v_add_f64 v[244:245], v[60:61], v[72:73]
	v_add_f64 v[246:247], v[68:69], v[60:61]
	v_add_f64 v[254:255], v[60:61], -v[72:73]
	v_fma_f64 v[60:61], v[74:75], -0.5, v[198:199]
	v_fma_f64 v[74:75], v[136:137], -0.5, v[200:201]
	v_add_f64 v[242:243], v[124:125], v[78:79]
	v_add_f64 v[84:85], v[124:125], -v[78:79]
	v_fma_f64 v[124:125], v[158:159], -0.5, v[204:205]
	v_fma_f64 v[132:133], v[166:167], -0.5, v[2:3]
	v_add_f64 v[2:3], v[168:169], v[144:145]
	v_fma_f64 v[136:137], v[172:173], -0.5, v[4:5]
	v_add_f64 v[4:5], v[178:179], v[140:141]
	;; [unrolled: 2-line block ×3, first 2 shown]
	v_add_f64 v[16:17], v[186:187], v[148:149]
	v_fma_f64 v[144:145], v[182:183], -0.5, v[20:21]
	v_add_f64 v[20:21], v[194:195], v[118:119]
	v_fma_f64 v[148:149], v[34:35], -0.5, v[46:47]
	v_fma_f64 v[150:151], v[190:191], -0.5, v[48:49]
	;; [unrolled: 1-line block ×4, first 2 shown]
	v_add_f64 v[26:27], v[214:215], v[24:25]
	v_add_f64 v[24:25], v[216:217], v[36:37]
	v_fma_f64 v[158:159], v[224:225], -0.5, v[64:65]
	v_add_f64 v[22:23], v[192:193], v[120:121]
	v_add_f64 v[34:35], v[228:229], v[38:39]
	v_add_f64 v[38:39], v[248:249], v[78:79]
	v_fma_f64 v[160:161], v[234:235], -0.5, v[30:31]
	v_add_f64 v[30:31], v[238:239], v[44:45]
	v_fma_f64 v[32:33], v[236:237], -0.5, v[32:33]
	v_add_f64 v[40:41], v[246:247], v[72:73]
	v_fma_f64 v[46:47], v[50:51], s[6:7], v[60:61]
	v_fma_f64 v[42:43], v[50:51], s[2:3], v[60:61]
	;; [unrolled: 1-line block ×8, first 2 shown]
	v_lshlrev_b32_e32 v220, 1, v82
	v_add_f64 v[82:83], v[80:81], -v[122:123]
	v_fma_f64 v[122:123], v[156:157], -0.5, v[202:203]
	v_add_f64 v[80:81], v[12:13], -v[36:37]
	v_add_f64 v[12:13], v[162:163], v[130:131]
	v_fma_f64 v[130:131], v[164:165], -0.5, v[0:1]
	v_add_f64 v[0:1], v[170:171], v[142:143]
	v_add_f64 v[36:37], v[226:227], v[28:29]
	;; [unrolled: 1-line block ×3, first 2 shown]
	v_fma_f64 v[52:53], v[126:127], s[6:7], v[124:125]
	v_fma_f64 v[142:143], v[174:175], -0.5, v[6:7]
	v_add_f64 v[6:7], v[176:177], v[58:59]
	v_fma_f64 v[156:157], v[222:223], -0.5, v[62:63]
	v_fma_f64 v[162:163], v[242:243], -0.5, v[66:67]
	;; [unrolled: 1-line block ×3, first 2 shown]
	v_fma_f64 v[66:67], v[70:71], s[2:3], v[136:137]
	v_fma_f64 v[70:71], v[70:71], s[6:7], v[136:137]
	;; [unrolled: 1-line block ×4, first 2 shown]
	v_lshlrev_b64 v[78:79], 4, v[220:221]
	v_fma_f64 v[48:49], v[82:83], s[2:3], v[74:75]
	v_fma_f64 v[54:55], v[128:129], s[6:7], v[122:123]
	;; [unrolled: 1-line block ×27, first 2 shown]
	v_add_co_u32 v80, s0, 0x3000, v88
	s_delay_alu instid0(VALU_DEP_1)
	v_add_co_ci_u32_e64 v81, s0, 0, v110, s0
	ds_store_b128 v112, v[8:11]
	ds_store_b128 v112, v[12:15] offset:1296
	ds_store_b128 v112, v[46:49] offset:8640
	;; [unrolled: 1-line block ×8, first 2 shown]
	v_add_co_u32 v60, s0, 0x3200, v88
	scratch_load_b32 v0, off, off offset:4  ; 4-byte Folded Reload
	v_add_co_ci_u32_e64 v61, s0, 0, v110, s0
	s_waitcnt vmcnt(0)
	ds_store_b128 v0, v[4:7]
	ds_store_b128 v0, v[66:69] offset:4320
	ds_store_b128 v0, v[70:73] offset:8640
	;; [unrolled: 1-line block ×8, first 2 shown]
	ds_store_b128 v111, v[24:27]
	ds_store_b128 v111, v[130:133] offset:4320
	ds_store_b128 v111, v[134:137] offset:8640
	;; [unrolled: 1-line block ×5, first 2 shown]
	scratch_load_b32 v0, off, off offset:20 ; 4-byte Folded Reload
	s_waitcnt vmcnt(0)
	ds_store_b128 v0, v[28:31] offset:25920
	ds_store_b128 v0, v[146:149] offset:30240
	;; [unrolled: 1-line block ×6, first 2 shown]
	s_waitcnt lgkmcnt(0)
	s_barrier
	buffer_gl0_inv
	s_clause 0x1
	global_load_b128 v[0:3], v[113:114], off offset:512
	global_load_b128 v[4:7], v[115:116], off offset:16
	scratch_load_b64 v[8:9], off, off offset:12 ; 8-byte Folded Reload
	s_waitcnt vmcnt(0)
	v_add_co_u32 v32, s0, s4, v8
	s_delay_alu instid0(VALU_DEP_1)
	v_add_co_ci_u32_e64 v33, s0, s5, v9, s0
	s_clause 0x5
	global_load_b128 v[8:11], v[94:95], off offset:512
	global_load_b128 v[12:15], v[96:97], off offset:16
	;; [unrolled: 1-line block ×6, first 2 shown]
	v_add_co_u32 v64, s0, 0x3000, v32
	s_delay_alu instid0(VALU_DEP_1) | instskip(SKIP_1) | instid1(VALU_DEP_1)
	v_add_co_ci_u32_e64 v65, s0, 0, v33, s0
	v_add_co_u32 v68, s0, 0x3200, v32
	v_add_co_ci_u32_e64 v69, s0, 0, v33, s0
	s_clause 0x7
	global_load_b128 v[32:35], v[102:103], off offset:512
	global_load_b128 v[36:39], v[104:105], off offset:16
	;; [unrolled: 1-line block ×8, first 2 shown]
	v_add_co_u32 v74, s0, s4, v78
	s_delay_alu instid0(VALU_DEP_1) | instskip(SKIP_4) | instid1(VALU_DEP_1)
	v_add_co_ci_u32_e64 v75, s0, s5, v79, s0
	s_clause 0x1
	global_load_b128 v[64:67], v[64:65], off offset:512
	global_load_b128 v[68:71], v[68:69], off offset:16
	v_add_co_u32 v72, s0, 0x3000, v74
	v_add_co_ci_u32_e64 v73, s0, 0, v75, s0
	v_add_co_u32 v76, s0, 0x3200, v74
	s_delay_alu instid0(VALU_DEP_1)
	v_add_co_ci_u32_e64 v77, s0, 0, v75, s0
	s_clause 0x1
	global_load_b128 v[72:75], v[72:73], off offset:512
	global_load_b128 v[76:79], v[76:77], off offset:16
	ds_load_b128 v[86:89], v112 offset:12960
	ds_load_b128 v[90:93], v112 offset:14256
	;; [unrolled: 1-line block ×20, first 2 shown]
	ds_load_b128 v[169:172], v112
	ds_load_b128 v[173:176], v112 offset:1296
	ds_load_b128 v[177:180], v112 offset:2592
	;; [unrolled: 1-line block ×5, first 2 shown]
	s_waitcnt lgkmcnt(25)
	v_mul_f64 v[80:81], v[88:89], v[2:3]
	v_mul_f64 v[2:3], v[86:87], v[2:3]
	s_waitcnt lgkmcnt(23)
	v_mul_f64 v[82:83], v[96:97], v[6:7]
	v_mul_f64 v[6:7], v[94:95], v[6:7]
	s_delay_alu instid0(VALU_DEP_4) | instskip(NEXT) | instid1(VALU_DEP_4)
	v_fma_f64 v[80:81], v[86:87], v[0:1], -v[80:81]
	v_fma_f64 v[86:87], v[88:89], v[0:1], v[2:3]
	s_delay_alu instid0(VALU_DEP_4) | instskip(NEXT) | instid1(VALU_DEP_4)
	v_fma_f64 v[82:83], v[94:95], v[4:5], -v[82:83]
	v_fma_f64 v[94:95], v[96:97], v[4:5], v[6:7]
	ds_load_b128 v[0:3], v112 offset:7776
	ds_load_b128 v[4:7], v112 offset:9072
	s_waitcnt vmcnt(15) lgkmcnt(23)
	v_mul_f64 v[193:194], v[104:105], v[18:19]
	v_mul_f64 v[18:19], v[102:103], v[18:19]
	s_waitcnt vmcnt(14) lgkmcnt(21)
	v_mul_f64 v[195:196], v[115:116], v[22:23]
	v_mul_f64 v[22:23], v[113:114], v[22:23]
	;; [unrolled: 1-line block ×4, first 2 shown]
	s_waitcnt vmcnt(13)
	v_mul_f64 v[197:198], v[108:109], v[26:27]
	v_mul_f64 v[26:27], v[106:107], v[26:27]
	;; [unrolled: 1-line block ×4, first 2 shown]
	s_waitcnt vmcnt(12) lgkmcnt(20)
	v_mul_f64 v[199:200], v[119:120], v[30:31]
	v_mul_f64 v[30:31], v[117:118], v[30:31]
	s_waitcnt vmcnt(11) lgkmcnt(19)
	v_mul_f64 v[201:202], v[123:124], v[34:35]
	v_mul_f64 v[34:35], v[121:122], v[34:35]
	;; [unrolled: 3-line block ×3, first 2 shown]
	v_mul_f64 v[203:204], v[131:132], v[38:39]
	v_mul_f64 v[38:39], v[129:130], v[38:39]
	s_waitcnt vmcnt(6) lgkmcnt(13)
	v_mul_f64 v[211:212], v[147:148], v[54:55]
	v_mul_f64 v[54:55], v[145:146], v[54:55]
	;; [unrolled: 1-line block ×4, first 2 shown]
	s_waitcnt vmcnt(5)
	v_mul_f64 v[213:214], v[143:144], v[58:59]
	v_mul_f64 v[58:59], v[141:142], v[58:59]
	;; [unrolled: 1-line block ×4, first 2 shown]
	s_waitcnt vmcnt(4) lgkmcnt(12)
	v_mul_f64 v[215:216], v[151:152], v[62:63]
	v_mul_f64 v[62:63], v[149:150], v[62:63]
	s_waitcnt vmcnt(3) lgkmcnt(11)
	v_mul_f64 v[88:89], v[155:156], v[66:67]
	v_mul_f64 v[66:67], v[153:154], v[66:67]
	;; [unrolled: 3-line block ×3, first 2 shown]
	s_waitcnt vmcnt(1)
	v_mul_f64 v[96:97], v[159:160], v[74:75]
	v_mul_f64 v[74:75], v[157:158], v[74:75]
	s_waitcnt vmcnt(0) lgkmcnt(8)
	v_mul_f64 v[219:220], v[167:168], v[78:79]
	v_mul_f64 v[78:79], v[165:166], v[78:79]
	v_fma_f64 v[84:85], v[90:91], v[8:9], -v[84:85]
	v_fma_f64 v[90:91], v[92:93], v[8:9], v[10:11]
	v_fma_f64 v[92:93], v[98:99], v[12:13], -v[110:111]
	v_fma_f64 v[98:99], v[100:101], v[12:13], v[14:15]
	;; [unrolled: 2-line block ×6, first 2 shown]
	ds_load_b128 v[8:11], v112 offset:10368
	ds_load_b128 v[12:15], v112 offset:11664
	s_waitcnt lgkmcnt(0)
	s_barrier
	buffer_gl0_inv
	v_fma_f64 v[22:23], v[121:122], v[32:33], -v[201:202]
	v_fma_f64 v[24:25], v[123:124], v[32:33], v[34:35]
	v_fma_f64 v[32:33], v[129:130], v[36:37], -v[203:204]
	v_fma_f64 v[34:35], v[131:132], v[36:37], v[38:39]
	;; [unrolled: 2-line block ×11, first 2 shown]
	v_add_f64 v[72:73], v[80:81], v[82:83]
	v_add_f64 v[74:75], v[86:87], v[94:95]
	v_fma_f64 v[68:69], v[165:166], v[76:77], -v[219:220]
	v_fma_f64 v[70:71], v[167:168], v[76:77], v[78:79]
	v_add_f64 v[76:77], v[171:172], v[86:87]
	v_add_f64 v[78:79], v[169:170], v[80:81]
	v_add_f64 v[86:87], v[86:87], -v[94:95]
	v_add_f64 v[80:81], v[80:81], -v[82:83]
	v_add_f64 v[110:111], v[173:174], v[84:85]
	v_add_f64 v[108:109], v[175:176], v[90:91]
	;; [unrolled: 1-line block ×12, first 2 shown]
	v_add_f64 v[90:91], v[90:91], -v[98:99]
	v_add_f64 v[84:85], v[84:85], -v[92:93]
	;; [unrolled: 1-line block ×6, first 2 shown]
	v_add_f64 v[139:140], v[187:188], v[24:25]
	v_add_f64 v[141:142], v[185:186], v[22:23]
	;; [unrolled: 1-line block ×4, first 2 shown]
	v_add_f64 v[143:144], v[24:25], -v[34:35]
	v_add_f64 v[145:146], v[22:23], -v[32:33]
	v_add_f64 v[163:164], v[2:3], v[42:43]
	v_add_f64 v[165:166], v[0:1], v[40:41]
	;; [unrolled: 1-line block ×10, first 2 shown]
	v_add_f64 v[167:168], v[42:43], -v[46:47]
	v_add_f64 v[193:194], v[40:41], -v[44:45]
	v_add_f64 v[40:41], v[48:49], v[52:53]
	v_add_f64 v[42:43], v[50:51], v[54:55]
	v_add_f64 v[199:200], v[50:51], -v[54:55]
	v_add_f64 v[201:202], v[48:49], -v[52:53]
	;; [unrolled: 1-line block ×4, first 2 shown]
	v_add_f64 v[203:204], v[10:11], v[58:59]
	v_add_f64 v[205:206], v[8:9], v[56:57]
	;; [unrolled: 1-line block ×4, first 2 shown]
	v_add_f64 v[207:208], v[58:59], -v[62:63]
	v_add_f64 v[209:210], v[56:57], -v[60:61]
	v_add_f64 v[211:212], v[14:15], v[66:67]
	v_add_f64 v[213:214], v[12:13], v[64:65]
	;; [unrolled: 1-line block ×4, first 2 shown]
	v_add_f64 v[215:216], v[66:67], -v[70:71]
	v_add_f64 v[217:218], v[64:65], -v[68:69]
	v_fma_f64 v[64:65], v[72:73], -0.5, v[169:170]
	v_fma_f64 v[66:67], v[74:75], -0.5, v[171:172]
	v_add_f64 v[18:19], v[76:77], v[94:95]
	v_add_f64 v[16:17], v[78:79], v[82:83]
	;; [unrolled: 1-line block ×4, first 2 shown]
	v_fma_f64 v[72:73], v[88:89], -0.5, v[173:174]
	v_fma_f64 v[74:75], v[96:97], -0.5, v[175:176]
	;; [unrolled: 1-line block ×6, first 2 shown]
	v_add_f64 v[26:27], v[117:118], v[104:105]
	v_add_f64 v[24:25], v[119:120], v[102:103]
	;; [unrolled: 1-line block ×6, first 2 shown]
	v_fma_f64 v[92:93], v[135:136], -0.5, v[185:186]
	v_fma_f64 v[94:95], v[137:138], -0.5, v[187:188]
	v_add_f64 v[38:39], v[151:152], v[38:39]
	v_add_f64 v[36:37], v[153:154], v[36:37]
	v_fma_f64 v[96:97], v[147:148], -0.5, v[189:190]
	v_fma_f64 v[98:99], v[149:150], -0.5, v[191:192]
	;; [unrolled: 1-line block ×6, first 2 shown]
	v_add_f64 v[2:3], v[163:164], v[46:47]
	v_add_f64 v[0:1], v[165:166], v[44:45]
	;; [unrolled: 1-line block ×4, first 2 shown]
	v_fma_f64 v[110:111], v[48:49], -0.5, v[8:9]
	v_fma_f64 v[119:120], v[50:51], -0.5, v[10:11]
	v_add_f64 v[10:11], v[203:204], v[62:63]
	v_add_f64 v[8:9], v[205:206], v[60:61]
	v_fma_f64 v[125:126], v[56:57], -0.5, v[12:13]
	v_fma_f64 v[127:128], v[58:59], -0.5, v[14:15]
	v_add_f64 v[14:15], v[211:212], v[70:71]
	v_add_f64 v[12:13], v[213:214], v[68:69]
	v_fma_f64 v[40:41], v[86:87], s[2:3], v[64:65]
	v_fma_f64 v[42:43], v[80:81], s[6:7], v[66:67]
	;; [unrolled: 1-line block ×40, first 2 shown]
	ds_store_b128 v112, v[16:19]
	ds_store_b128 v112, v[20:23] offset:1296
	ds_store_b128 v112, v[24:27] offset:2592
	;; [unrolled: 1-line block ×29, first 2 shown]
	s_waitcnt lgkmcnt(0)
	s_barrier
	buffer_gl0_inv
	s_and_saveexec_b32 s0, vcc_lo
	s_cbranch_execz .LBB0_19
; %bb.18:
	s_clause 0x1
	scratch_load_b64 v[0:1], off, off offset:64
	scratch_load_b64 v[2:3], off, off offset:72
	s_waitcnt vmcnt(1)
	v_dual_mov_b32 v36, v221 :: v_dual_mov_b32 v35, v0
	s_delay_alu instid0(VALU_DEP_1)
	v_lshlrev_b64 v[0:1], 4, v[35:36]
	s_waitcnt vmcnt(0)
	v_add_co_u32 v36, vcc_lo, s8, v2
	v_lshl_add_u32 v34, v35, 4, 0
	v_add_nc_u32_e32 v220, 0x51, v35
	v_add_co_ci_u32_e32 v37, vcc_lo, s9, v3, vcc_lo
	s_delay_alu instid0(VALU_DEP_4) | instskip(NEXT) | instid1(VALU_DEP_3)
	v_add_co_u32 v18, vcc_lo, v36, v0
	v_lshlrev_b64 v[16:17], 4, v[220:221]
	v_add_nc_u32_e32 v220, 0xa2, v35
	s_delay_alu instid0(VALU_DEP_4)
	v_add_co_ci_u32_e32 v19, vcc_lo, v37, v1, vcc_lo
	ds_load_b128 v[0:3], v34
	ds_load_b128 v[4:7], v34 offset:1296
	ds_load_b128 v[8:11], v34 offset:2592
	;; [unrolled: 1-line block ×3, first 2 shown]
	v_lshlrev_b64 v[20:21], 4, v[220:221]
	v_add_nc_u32_e32 v220, 0xf3, v35
	v_add_co_u32 v16, vcc_lo, v36, v16
	v_add_co_ci_u32_e32 v17, vcc_lo, v37, v17, vcc_lo
	s_delay_alu instid0(VALU_DEP_3) | instskip(SKIP_3) | instid1(VALU_DEP_4)
	v_lshlrev_b64 v[22:23], 4, v[220:221]
	v_add_nc_u32_e32 v220, 0x144, v35
	v_add_co_u32 v20, vcc_lo, v36, v20
	v_add_co_ci_u32_e32 v21, vcc_lo, v37, v21, vcc_lo
	v_add_co_u32 v22, vcc_lo, v36, v22
	s_delay_alu instid0(VALU_DEP_4)
	v_lshlrev_b64 v[24:25], 4, v[220:221]
	v_add_nc_u32_e32 v220, 0x195, v35
	v_add_co_ci_u32_e32 v23, vcc_lo, v37, v23, vcc_lo
	s_waitcnt lgkmcnt(3)
	global_store_b128 v[18:19], v[0:3], off
	s_waitcnt lgkmcnt(2)
	global_store_b128 v[16:17], v[4:7], off
	;; [unrolled: 2-line block ×4, first 2 shown]
	v_lshlrev_b64 v[16:17], 4, v[220:221]
	v_add_nc_u32_e32 v220, 0x1e6, v35
	ds_load_b128 v[0:3], v34 offset:5184
	ds_load_b128 v[4:7], v34 offset:6480
	;; [unrolled: 1-line block ×4, first 2 shown]
	v_add_co_u32 v18, vcc_lo, v36, v24
	v_lshlrev_b64 v[20:21], 4, v[220:221]
	v_add_nc_u32_e32 v220, 0x237, v35
	v_add_co_ci_u32_e32 v19, vcc_lo, v37, v25, vcc_lo
	v_add_co_u32 v16, vcc_lo, v36, v16
	s_delay_alu instid0(VALU_DEP_3)
	v_lshlrev_b64 v[22:23], 4, v[220:221]
	v_add_nc_u32_e32 v220, 0x288, v35
	v_add_co_ci_u32_e32 v17, vcc_lo, v37, v17, vcc_lo
	v_add_co_u32 v20, vcc_lo, v36, v20
	v_add_co_ci_u32_e32 v21, vcc_lo, v37, v21, vcc_lo
	v_add_co_u32 v22, vcc_lo, v36, v22
	v_lshlrev_b64 v[24:25], 4, v[220:221]
	v_add_nc_u32_e32 v220, 0x2d9, v35
	v_add_co_ci_u32_e32 v23, vcc_lo, v37, v23, vcc_lo
	s_waitcnt lgkmcnt(3)
	global_store_b128 v[18:19], v[0:3], off
	s_waitcnt lgkmcnt(2)
	global_store_b128 v[16:17], v[4:7], off
	s_waitcnt lgkmcnt(1)
	global_store_b128 v[20:21], v[8:11], off
	s_waitcnt lgkmcnt(0)
	global_store_b128 v[22:23], v[12:15], off
	ds_load_b128 v[0:3], v34 offset:10368
	ds_load_b128 v[4:7], v34 offset:11664
	v_lshlrev_b64 v[16:17], 4, v[220:221]
	v_add_nc_u32_e32 v220, 0x32a, v35
	ds_load_b128 v[8:11], v34 offset:12960
	ds_load_b128 v[12:15], v34 offset:14256
	v_add_co_u32 v18, vcc_lo, v36, v24
	v_add_co_ci_u32_e32 v19, vcc_lo, v37, v25, vcc_lo
	v_lshlrev_b64 v[20:21], 4, v[220:221]
	v_add_nc_u32_e32 v220, 0x37b, v35
	v_add_co_u32 v16, vcc_lo, v36, v16
	v_add_co_ci_u32_e32 v17, vcc_lo, v37, v17, vcc_lo
	s_delay_alu instid0(VALU_DEP_3) | instskip(SKIP_3) | instid1(VALU_DEP_4)
	v_lshlrev_b64 v[22:23], 4, v[220:221]
	v_add_nc_u32_e32 v220, 0x3cc, v35
	v_add_co_u32 v20, vcc_lo, v36, v20
	v_add_co_ci_u32_e32 v21, vcc_lo, v37, v21, vcc_lo
	v_add_co_u32 v22, vcc_lo, v36, v22
	s_delay_alu instid0(VALU_DEP_4)
	v_lshlrev_b64 v[24:25], 4, v[220:221]
	v_add_nc_u32_e32 v220, 0x41d, v35
	v_add_co_ci_u32_e32 v23, vcc_lo, v37, v23, vcc_lo
	s_waitcnt lgkmcnt(3)
	global_store_b128 v[18:19], v[0:3], off
	s_waitcnt lgkmcnt(2)
	global_store_b128 v[16:17], v[4:7], off
	s_waitcnt lgkmcnt(1)
	global_store_b128 v[20:21], v[8:11], off
	s_waitcnt lgkmcnt(0)
	global_store_b128 v[22:23], v[12:15], off
	ds_load_b128 v[0:3], v34 offset:15552
	ds_load_b128 v[4:7], v34 offset:16848
	v_lshlrev_b64 v[16:17], 4, v[220:221]
	v_add_nc_u32_e32 v220, 0x46e, v35
	ds_load_b128 v[8:11], v34 offset:18144
	ds_load_b128 v[12:15], v34 offset:19440
	v_add_co_u32 v18, vcc_lo, v36, v24
	v_add_co_ci_u32_e32 v19, vcc_lo, v37, v25, vcc_lo
	v_lshlrev_b64 v[20:21], 4, v[220:221]
	v_add_nc_u32_e32 v220, 0x4bf, v35
	v_add_co_u32 v16, vcc_lo, v36, v16
	v_add_co_ci_u32_e32 v17, vcc_lo, v37, v17, vcc_lo
	s_delay_alu instid0(VALU_DEP_3) | instskip(SKIP_3) | instid1(VALU_DEP_4)
	v_lshlrev_b64 v[22:23], 4, v[220:221]
	v_add_nc_u32_e32 v220, 0x510, v35
	v_add_co_u32 v20, vcc_lo, v36, v20
	v_add_co_ci_u32_e32 v21, vcc_lo, v37, v21, vcc_lo
	v_add_co_u32 v22, vcc_lo, v36, v22
	s_delay_alu instid0(VALU_DEP_4)
	v_lshlrev_b64 v[24:25], 4, v[220:221]
	v_add_nc_u32_e32 v220, 0x561, v35
	v_add_co_ci_u32_e32 v23, vcc_lo, v37, v23, vcc_lo
	s_waitcnt lgkmcnt(3)
	global_store_b128 v[18:19], v[0:3], off
	s_waitcnt lgkmcnt(2)
	global_store_b128 v[16:17], v[4:7], off
	s_waitcnt lgkmcnt(1)
	global_store_b128 v[20:21], v[8:11], off
	s_waitcnt lgkmcnt(0)
	global_store_b128 v[22:23], v[12:15], off
	ds_load_b128 v[0:3], v34 offset:20736
	ds_load_b128 v[4:7], v34 offset:22032
	v_lshlrev_b64 v[16:17], 4, v[220:221]
	v_add_nc_u32_e32 v220, 0x5b2, v35
	ds_load_b128 v[8:11], v34 offset:23328
	ds_load_b128 v[12:15], v34 offset:24624
	v_add_co_u32 v18, vcc_lo, v36, v24
	v_add_co_ci_u32_e32 v19, vcc_lo, v37, v25, vcc_lo
	v_lshlrev_b64 v[20:21], 4, v[220:221]
	v_add_nc_u32_e32 v220, 0x603, v35
	v_add_co_u32 v16, vcc_lo, v36, v16
	v_add_co_ci_u32_e32 v17, vcc_lo, v37, v17, vcc_lo
	s_delay_alu instid0(VALU_DEP_3) | instskip(SKIP_3) | instid1(VALU_DEP_4)
	v_lshlrev_b64 v[22:23], 4, v[220:221]
	v_add_nc_u32_e32 v220, 0x654, v35
	v_add_co_u32 v20, vcc_lo, v36, v20
	v_add_co_ci_u32_e32 v21, vcc_lo, v37, v21, vcc_lo
	v_add_co_u32 v22, vcc_lo, v36, v22
	s_delay_alu instid0(VALU_DEP_4)
	v_lshlrev_b64 v[24:25], 4, v[220:221]
	v_add_nc_u32_e32 v220, 0x6a5, v35
	v_add_co_ci_u32_e32 v23, vcc_lo, v37, v23, vcc_lo
	s_waitcnt lgkmcnt(3)
	global_store_b128 v[18:19], v[0:3], off
	s_waitcnt lgkmcnt(2)
	global_store_b128 v[16:17], v[4:7], off
	;; [unrolled: 2-line block ×4, first 2 shown]
	ds_load_b128 v[0:3], v34 offset:25920
	ds_load_b128 v[4:7], v34 offset:27216
	v_lshlrev_b64 v[16:17], 4, v[220:221]
	v_add_nc_u32_e32 v220, 0x6f6, v35
	ds_load_b128 v[8:11], v34 offset:28512
	ds_load_b128 v[12:15], v34 offset:29808
	v_add_co_u32 v18, vcc_lo, v36, v24
	v_add_co_ci_u32_e32 v19, vcc_lo, v37, v25, vcc_lo
	v_lshlrev_b64 v[20:21], 4, v[220:221]
	v_add_nc_u32_e32 v220, 0x747, v35
	v_add_co_u32 v16, vcc_lo, v36, v16
	v_add_co_ci_u32_e32 v17, vcc_lo, v37, v17, vcc_lo
	s_delay_alu instid0(VALU_DEP_3) | instskip(SKIP_3) | instid1(VALU_DEP_3)
	v_lshlrev_b64 v[22:23], 4, v[220:221]
	v_add_nc_u32_e32 v220, 0x798, v35
	v_add_co_u32 v20, vcc_lo, v36, v20
	v_add_co_ci_u32_e32 v21, vcc_lo, v37, v21, vcc_lo
	v_lshlrev_b64 v[24:25], 4, v[220:221]
	v_add_nc_u32_e32 v220, 0x7e9, v35
	v_add_co_u32 v22, vcc_lo, v36, v22
	v_add_co_ci_u32_e32 v23, vcc_lo, v37, v23, vcc_lo
	s_waitcnt lgkmcnt(3)
	global_store_b128 v[18:19], v[0:3], off
	s_waitcnt lgkmcnt(2)
	global_store_b128 v[16:17], v[4:7], off
	;; [unrolled: 2-line block ×4, first 2 shown]
	v_lshlrev_b64 v[8:9], 4, v[220:221]
	v_add_nc_u32_e32 v220, 0x83a, v35
	v_add_co_u32 v24, vcc_lo, v36, v24
	v_add_co_ci_u32_e32 v25, vcc_lo, v37, v25, vcc_lo
	s_delay_alu instid0(VALU_DEP_3) | instskip(SKIP_3) | instid1(VALU_DEP_4)
	v_lshlrev_b64 v[10:11], 4, v[220:221]
	v_add_co_u32 v26, vcc_lo, v36, v8
	v_add_nc_u32_e32 v220, 0x88b, v35
	v_add_co_ci_u32_e32 v27, vcc_lo, v37, v9, vcc_lo
	v_add_co_u32 v30, vcc_lo, v36, v10
	ds_load_b128 v[0:3], v34 offset:31104
	ds_load_b128 v[4:7], v34 offset:32400
	v_add_co_ci_u32_e32 v31, vcc_lo, v37, v11, vcc_lo
	ds_load_b128 v[8:11], v34 offset:33696
	ds_load_b128 v[12:15], v34 offset:34992
	;; [unrolled: 1-line block ×4, first 2 shown]
	v_lshlrev_b64 v[28:29], 4, v[220:221]
	v_add_nc_u32_e32 v220, 0x8dc, v35
	s_delay_alu instid0(VALU_DEP_1) | instskip(SKIP_1) | instid1(VALU_DEP_4)
	v_lshlrev_b64 v[32:33], 4, v[220:221]
	v_add_nc_u32_e32 v220, 0x92d, v35
	v_add_co_u32 v28, vcc_lo, v36, v28
	v_add_co_ci_u32_e32 v29, vcc_lo, v37, v29, vcc_lo
	s_delay_alu instid0(VALU_DEP_3) | instskip(SKIP_2) | instid1(VALU_DEP_3)
	v_lshlrev_b64 v[34:35], 4, v[220:221]
	v_add_co_u32 v32, vcc_lo, v36, v32
	v_add_co_ci_u32_e32 v33, vcc_lo, v37, v33, vcc_lo
	v_add_co_u32 v34, vcc_lo, v36, v34
	s_delay_alu instid0(VALU_DEP_4)
	v_add_co_ci_u32_e32 v35, vcc_lo, v37, v35, vcc_lo
	s_waitcnt lgkmcnt(5)
	global_store_b128 v[24:25], v[0:3], off
	s_waitcnt lgkmcnt(4)
	global_store_b128 v[26:27], v[4:7], off
	;; [unrolled: 2-line block ×6, first 2 shown]
.LBB0_19:
	s_nop 0
	s_sendmsg sendmsg(MSG_DEALLOC_VGPRS)
	s_endpgm
	.section	.rodata,"a",@progbits
	.p2align	6, 0x0
	.amdhsa_kernel fft_rtc_fwd_len2430_factors_10_3_3_3_3_3_wgs_81_tpt_81_halfLds_dp_ip_CI_unitstride_sbrr_C2R_dirReg
		.amdhsa_group_segment_fixed_size 0
		.amdhsa_private_segment_fixed_size 168
		.amdhsa_kernarg_size 88
		.amdhsa_user_sgpr_count 15
		.amdhsa_user_sgpr_dispatch_ptr 0
		.amdhsa_user_sgpr_queue_ptr 0
		.amdhsa_user_sgpr_kernarg_segment_ptr 1
		.amdhsa_user_sgpr_dispatch_id 0
		.amdhsa_user_sgpr_private_segment_size 0
		.amdhsa_wavefront_size32 1
		.amdhsa_uses_dynamic_stack 0
		.amdhsa_enable_private_segment 1
		.amdhsa_system_sgpr_workgroup_id_x 1
		.amdhsa_system_sgpr_workgroup_id_y 0
		.amdhsa_system_sgpr_workgroup_id_z 0
		.amdhsa_system_sgpr_workgroup_info 0
		.amdhsa_system_vgpr_workitem_id 0
		.amdhsa_next_free_vgpr 256
		.amdhsa_next_free_sgpr 21
		.amdhsa_reserve_vcc 1
		.amdhsa_float_round_mode_32 0
		.amdhsa_float_round_mode_16_64 0
		.amdhsa_float_denorm_mode_32 3
		.amdhsa_float_denorm_mode_16_64 3
		.amdhsa_dx10_clamp 1
		.amdhsa_ieee_mode 1
		.amdhsa_fp16_overflow 0
		.amdhsa_workgroup_processor_mode 1
		.amdhsa_memory_ordered 1
		.amdhsa_forward_progress 0
		.amdhsa_shared_vgpr_count 0
		.amdhsa_exception_fp_ieee_invalid_op 0
		.amdhsa_exception_fp_denorm_src 0
		.amdhsa_exception_fp_ieee_div_zero 0
		.amdhsa_exception_fp_ieee_overflow 0
		.amdhsa_exception_fp_ieee_underflow 0
		.amdhsa_exception_fp_ieee_inexact 0
		.amdhsa_exception_int_div_zero 0
	.end_amdhsa_kernel
	.text
.Lfunc_end0:
	.size	fft_rtc_fwd_len2430_factors_10_3_3_3_3_3_wgs_81_tpt_81_halfLds_dp_ip_CI_unitstride_sbrr_C2R_dirReg, .Lfunc_end0-fft_rtc_fwd_len2430_factors_10_3_3_3_3_3_wgs_81_tpt_81_halfLds_dp_ip_CI_unitstride_sbrr_C2R_dirReg
                                        ; -- End function
	.section	.AMDGPU.csdata,"",@progbits
; Kernel info:
; codeLenInByte = 28168
; NumSgprs: 23
; NumVgprs: 256
; ScratchSize: 168
; MemoryBound: 0
; FloatMode: 240
; IeeeMode: 1
; LDSByteSize: 0 bytes/workgroup (compile time only)
; SGPRBlocks: 2
; VGPRBlocks: 31
; NumSGPRsForWavesPerEU: 23
; NumVGPRsForWavesPerEU: 256
; Occupancy: 5
; WaveLimiterHint : 1
; COMPUTE_PGM_RSRC2:SCRATCH_EN: 1
; COMPUTE_PGM_RSRC2:USER_SGPR: 15
; COMPUTE_PGM_RSRC2:TRAP_HANDLER: 0
; COMPUTE_PGM_RSRC2:TGID_X_EN: 1
; COMPUTE_PGM_RSRC2:TGID_Y_EN: 0
; COMPUTE_PGM_RSRC2:TGID_Z_EN: 0
; COMPUTE_PGM_RSRC2:TIDIG_COMP_CNT: 0
	.text
	.p2alignl 7, 3214868480
	.fill 96, 4, 3214868480
	.type	__hip_cuid_81907c97339f0fe6,@object ; @__hip_cuid_81907c97339f0fe6
	.section	.bss,"aw",@nobits
	.globl	__hip_cuid_81907c97339f0fe6
__hip_cuid_81907c97339f0fe6:
	.byte	0                               ; 0x0
	.size	__hip_cuid_81907c97339f0fe6, 1

	.ident	"AMD clang version 19.0.0git (https://github.com/RadeonOpenCompute/llvm-project roc-6.4.0 25133 c7fe45cf4b819c5991fe208aaa96edf142730f1d)"
	.section	".note.GNU-stack","",@progbits
	.addrsig
	.addrsig_sym __hip_cuid_81907c97339f0fe6
	.amdgpu_metadata
---
amdhsa.kernels:
  - .args:
      - .actual_access:  read_only
        .address_space:  global
        .offset:         0
        .size:           8
        .value_kind:     global_buffer
      - .offset:         8
        .size:           8
        .value_kind:     by_value
      - .actual_access:  read_only
        .address_space:  global
        .offset:         16
        .size:           8
        .value_kind:     global_buffer
      - .actual_access:  read_only
        .address_space:  global
        .offset:         24
        .size:           8
        .value_kind:     global_buffer
      - .offset:         32
        .size:           8
        .value_kind:     by_value
      - .actual_access:  read_only
        .address_space:  global
        .offset:         40
        .size:           8
        .value_kind:     global_buffer
      - .actual_access:  read_only
        .address_space:  global
        .offset:         48
        .size:           8
        .value_kind:     global_buffer
      - .offset:         56
        .size:           4
        .value_kind:     by_value
      - .actual_access:  read_only
        .address_space:  global
        .offset:         64
        .size:           8
        .value_kind:     global_buffer
      - .actual_access:  read_only
        .address_space:  global
        .offset:         72
        .size:           8
        .value_kind:     global_buffer
      - .address_space:  global
        .offset:         80
        .size:           8
        .value_kind:     global_buffer
    .group_segment_fixed_size: 0
    .kernarg_segment_align: 8
    .kernarg_segment_size: 88
    .language:       OpenCL C
    .language_version:
      - 2
      - 0
    .max_flat_workgroup_size: 81
    .name:           fft_rtc_fwd_len2430_factors_10_3_3_3_3_3_wgs_81_tpt_81_halfLds_dp_ip_CI_unitstride_sbrr_C2R_dirReg
    .private_segment_fixed_size: 168
    .sgpr_count:     23
    .sgpr_spill_count: 0
    .symbol:         fft_rtc_fwd_len2430_factors_10_3_3_3_3_3_wgs_81_tpt_81_halfLds_dp_ip_CI_unitstride_sbrr_C2R_dirReg.kd
    .uniform_work_group_size: 1
    .uses_dynamic_stack: false
    .vgpr_count:     256
    .vgpr_spill_count: 54
    .wavefront_size: 32
    .workgroup_processor_mode: 1
amdhsa.target:   amdgcn-amd-amdhsa--gfx1100
amdhsa.version:
  - 1
  - 2
...

	.end_amdgpu_metadata
